;; amdgpu-corpus repo=ROCm/rocFFT kind=compiled arch=gfx1201 opt=O3
	.text
	.amdgcn_target "amdgcn-amd-amdhsa--gfx1201"
	.amdhsa_code_object_version 6
	.protected	fft_rtc_fwd_len510_factors_17_2_3_5_wgs_238_tpt_34_halfLds_dp_op_CI_CI_unitstride_sbrr_dirReg ; -- Begin function fft_rtc_fwd_len510_factors_17_2_3_5_wgs_238_tpt_34_halfLds_dp_op_CI_CI_unitstride_sbrr_dirReg
	.globl	fft_rtc_fwd_len510_factors_17_2_3_5_wgs_238_tpt_34_halfLds_dp_op_CI_CI_unitstride_sbrr_dirReg
	.p2align	8
	.type	fft_rtc_fwd_len510_factors_17_2_3_5_wgs_238_tpt_34_halfLds_dp_op_CI_CI_unitstride_sbrr_dirReg,@function
fft_rtc_fwd_len510_factors_17_2_3_5_wgs_238_tpt_34_halfLds_dp_op_CI_CI_unitstride_sbrr_dirReg: ; @fft_rtc_fwd_len510_factors_17_2_3_5_wgs_238_tpt_34_halfLds_dp_op_CI_CI_unitstride_sbrr_dirReg
; %bb.0:
	s_load_b128 s[8:11], s[0:1], 0x0
	v_mul_u32_u24_e32 v1, 0x788, v0
	s_clause 0x1
	s_load_b128 s[4:7], s[0:1], 0x58
	s_load_b128 s[12:15], s[0:1], 0x18
	v_mov_b32_e32 v3, 0
	v_lshrrev_b32_e32 v4, 16, v1
	s_delay_alu instid0(VALU_DEP_1) | instskip(SKIP_1) | instid1(VALU_DEP_4)
	v_mad_co_u64_u32 v[90:91], null, ttmp9, 7, v[4:5]
	v_mov_b32_e32 v1, 0
	v_dual_mov_b32 v2, 0 :: v_dual_mov_b32 v91, v3
	s_delay_alu instid0(VALU_DEP_1) | instskip(SKIP_2) | instid1(VALU_DEP_3)
	v_dual_mov_b32 v101, v2 :: v_dual_mov_b32 v100, v1
	s_wait_kmcnt 0x0
	v_cmp_lt_u64_e64 s2, s[10:11], 2
	v_dual_mov_b32 v105, v91 :: v_dual_mov_b32 v104, v90
	s_delay_alu instid0(VALU_DEP_2)
	s_and_b32 vcc_lo, exec_lo, s2
	s_cbranch_vccnz .LBB0_8
; %bb.1:
	s_load_b64 s[2:3], s[0:1], 0x10
	v_mov_b32_e32 v1, 0
	v_dual_mov_b32 v2, 0 :: v_dual_mov_b32 v5, v90
	v_mov_b32_e32 v6, v91
	s_add_nc_u64 s[16:17], s[14:15], 8
	s_add_nc_u64 s[18:19], s[12:13], 8
	s_delay_alu instid0(VALU_DEP_2)
	v_dual_mov_b32 v101, v2 :: v_dual_mov_b32 v100, v1
	s_mov_b64 s[20:21], 1
	s_wait_kmcnt 0x0
	s_add_nc_u64 s[22:23], s[2:3], 8
	s_mov_b32 s3, 0
.LBB0_2:                                ; =>This Inner Loop Header: Depth=1
	s_load_b64 s[24:25], s[22:23], 0x0
                                        ; implicit-def: $vgpr104_vgpr105
	s_mov_b32 s2, exec_lo
	s_wait_kmcnt 0x0
	v_or_b32_e32 v4, s25, v6
	s_delay_alu instid0(VALU_DEP_1)
	v_cmpx_ne_u64_e32 0, v[3:4]
	s_wait_alu 0xfffe
	s_xor_b32 s26, exec_lo, s2
	s_cbranch_execz .LBB0_4
; %bb.3:                                ;   in Loop: Header=BB0_2 Depth=1
	s_cvt_f32_u32 s2, s24
	s_cvt_f32_u32 s27, s25
	s_sub_nc_u64 s[30:31], 0, s[24:25]
	s_wait_alu 0xfffe
	s_delay_alu instid0(SALU_CYCLE_1) | instskip(SKIP_1) | instid1(SALU_CYCLE_2)
	s_fmamk_f32 s2, s27, 0x4f800000, s2
	s_wait_alu 0xfffe
	v_s_rcp_f32 s2, s2
	s_delay_alu instid0(TRANS32_DEP_1) | instskip(SKIP_1) | instid1(SALU_CYCLE_2)
	s_mul_f32 s2, s2, 0x5f7ffffc
	s_wait_alu 0xfffe
	s_mul_f32 s27, s2, 0x2f800000
	s_wait_alu 0xfffe
	s_delay_alu instid0(SALU_CYCLE_2) | instskip(SKIP_1) | instid1(SALU_CYCLE_2)
	s_trunc_f32 s27, s27
	s_wait_alu 0xfffe
	s_fmamk_f32 s2, s27, 0xcf800000, s2
	s_cvt_u32_f32 s29, s27
	s_wait_alu 0xfffe
	s_delay_alu instid0(SALU_CYCLE_1) | instskip(SKIP_1) | instid1(SALU_CYCLE_2)
	s_cvt_u32_f32 s28, s2
	s_wait_alu 0xfffe
	s_mul_u64 s[34:35], s[30:31], s[28:29]
	s_wait_alu 0xfffe
	s_mul_hi_u32 s37, s28, s35
	s_mul_i32 s36, s28, s35
	s_mul_hi_u32 s2, s28, s34
	s_mul_i32 s33, s29, s34
	s_wait_alu 0xfffe
	s_add_nc_u64 s[36:37], s[2:3], s[36:37]
	s_mul_hi_u32 s27, s29, s34
	s_mul_hi_u32 s38, s29, s35
	s_add_co_u32 s2, s36, s33
	s_wait_alu 0xfffe
	s_add_co_ci_u32 s2, s37, s27
	s_mul_i32 s34, s29, s35
	s_add_co_ci_u32 s35, s38, 0
	s_wait_alu 0xfffe
	s_add_nc_u64 s[34:35], s[2:3], s[34:35]
	s_wait_alu 0xfffe
	v_add_co_u32 v4, s2, s28, s34
	s_delay_alu instid0(VALU_DEP_1) | instskip(SKIP_1) | instid1(VALU_DEP_1)
	s_cmp_lg_u32 s2, 0
	s_add_co_ci_u32 s29, s29, s35
	v_readfirstlane_b32 s28, v4
	s_wait_alu 0xfffe
	s_delay_alu instid0(VALU_DEP_1)
	s_mul_u64 s[30:31], s[30:31], s[28:29]
	s_wait_alu 0xfffe
	s_mul_hi_u32 s35, s28, s31
	s_mul_i32 s34, s28, s31
	s_mul_hi_u32 s2, s28, s30
	s_mul_i32 s33, s29, s30
	s_wait_alu 0xfffe
	s_add_nc_u64 s[34:35], s[2:3], s[34:35]
	s_mul_hi_u32 s27, s29, s30
	s_mul_hi_u32 s28, s29, s31
	s_wait_alu 0xfffe
	s_add_co_u32 s2, s34, s33
	s_add_co_ci_u32 s2, s35, s27
	s_mul_i32 s30, s29, s31
	s_add_co_ci_u32 s31, s28, 0
	s_wait_alu 0xfffe
	s_add_nc_u64 s[30:31], s[2:3], s[30:31]
	s_wait_alu 0xfffe
	v_add_co_u32 v4, s2, v4, s30
	s_delay_alu instid0(VALU_DEP_1) | instskip(SKIP_1) | instid1(VALU_DEP_1)
	s_cmp_lg_u32 s2, 0
	s_add_co_ci_u32 s2, s29, s31
	v_mul_hi_u32 v13, v5, v4
	s_wait_alu 0xfffe
	v_mad_co_u64_u32 v[7:8], null, v5, s2, 0
	v_mad_co_u64_u32 v[9:10], null, v6, v4, 0
	;; [unrolled: 1-line block ×3, first 2 shown]
	s_delay_alu instid0(VALU_DEP_3) | instskip(SKIP_1) | instid1(VALU_DEP_4)
	v_add_co_u32 v4, vcc_lo, v13, v7
	s_wait_alu 0xfffd
	v_add_co_ci_u32_e32 v7, vcc_lo, 0, v8, vcc_lo
	s_delay_alu instid0(VALU_DEP_2) | instskip(SKIP_1) | instid1(VALU_DEP_2)
	v_add_co_u32 v4, vcc_lo, v4, v9
	s_wait_alu 0xfffd
	v_add_co_ci_u32_e32 v4, vcc_lo, v7, v10, vcc_lo
	s_wait_alu 0xfffd
	v_add_co_ci_u32_e32 v7, vcc_lo, 0, v12, vcc_lo
	s_delay_alu instid0(VALU_DEP_2) | instskip(SKIP_1) | instid1(VALU_DEP_2)
	v_add_co_u32 v4, vcc_lo, v4, v11
	s_wait_alu 0xfffd
	v_add_co_ci_u32_e32 v9, vcc_lo, 0, v7, vcc_lo
	s_delay_alu instid0(VALU_DEP_2) | instskip(SKIP_1) | instid1(VALU_DEP_3)
	v_mul_lo_u32 v10, s25, v4
	v_mad_co_u64_u32 v[7:8], null, s24, v4, 0
	v_mul_lo_u32 v11, s24, v9
	s_delay_alu instid0(VALU_DEP_2) | instskip(NEXT) | instid1(VALU_DEP_2)
	v_sub_co_u32 v7, vcc_lo, v5, v7
	v_add3_u32 v8, v8, v11, v10
	s_delay_alu instid0(VALU_DEP_1) | instskip(SKIP_1) | instid1(VALU_DEP_1)
	v_sub_nc_u32_e32 v10, v6, v8
	s_wait_alu 0xfffd
	v_subrev_co_ci_u32_e64 v10, s2, s25, v10, vcc_lo
	v_add_co_u32 v11, s2, v4, 2
	s_wait_alu 0xf1ff
	v_add_co_ci_u32_e64 v12, s2, 0, v9, s2
	v_sub_co_u32 v13, s2, v7, s24
	v_sub_co_ci_u32_e32 v8, vcc_lo, v6, v8, vcc_lo
	s_wait_alu 0xf1ff
	v_subrev_co_ci_u32_e64 v10, s2, 0, v10, s2
	s_delay_alu instid0(VALU_DEP_3) | instskip(NEXT) | instid1(VALU_DEP_3)
	v_cmp_le_u32_e32 vcc_lo, s24, v13
	v_cmp_eq_u32_e64 s2, s25, v8
	s_wait_alu 0xfffd
	v_cndmask_b32_e64 v13, 0, -1, vcc_lo
	v_cmp_le_u32_e32 vcc_lo, s25, v10
	s_wait_alu 0xfffd
	v_cndmask_b32_e64 v14, 0, -1, vcc_lo
	v_cmp_le_u32_e32 vcc_lo, s24, v7
	;; [unrolled: 3-line block ×3, first 2 shown]
	s_wait_alu 0xfffd
	v_cndmask_b32_e64 v15, 0, -1, vcc_lo
	v_cmp_eq_u32_e32 vcc_lo, s25, v10
	s_wait_alu 0xf1ff
	s_delay_alu instid0(VALU_DEP_2)
	v_cndmask_b32_e64 v7, v15, v7, s2
	s_wait_alu 0xfffd
	v_cndmask_b32_e32 v10, v14, v13, vcc_lo
	v_add_co_u32 v13, vcc_lo, v4, 1
	s_wait_alu 0xfffd
	v_add_co_ci_u32_e32 v14, vcc_lo, 0, v9, vcc_lo
	s_delay_alu instid0(VALU_DEP_3) | instskip(SKIP_1) | instid1(VALU_DEP_2)
	v_cmp_ne_u32_e32 vcc_lo, 0, v10
	s_wait_alu 0xfffd
	v_cndmask_b32_e32 v8, v14, v12, vcc_lo
	v_cndmask_b32_e32 v10, v13, v11, vcc_lo
	v_cmp_ne_u32_e32 vcc_lo, 0, v7
	s_wait_alu 0xfffd
	s_delay_alu instid0(VALU_DEP_2)
	v_dual_cndmask_b32 v105, v9, v8 :: v_dual_cndmask_b32 v104, v4, v10
.LBB0_4:                                ;   in Loop: Header=BB0_2 Depth=1
	s_wait_alu 0xfffe
	s_and_not1_saveexec_b32 s2, s26
	s_cbranch_execz .LBB0_6
; %bb.5:                                ;   in Loop: Header=BB0_2 Depth=1
	v_cvt_f32_u32_e32 v4, s24
	s_sub_co_i32 s26, 0, s24
	v_mov_b32_e32 v105, v3
	s_delay_alu instid0(VALU_DEP_2) | instskip(NEXT) | instid1(TRANS32_DEP_1)
	v_rcp_iflag_f32_e32 v4, v4
	v_mul_f32_e32 v4, 0x4f7ffffe, v4
	s_delay_alu instid0(VALU_DEP_1) | instskip(SKIP_1) | instid1(VALU_DEP_1)
	v_cvt_u32_f32_e32 v4, v4
	s_wait_alu 0xfffe
	v_mul_lo_u32 v7, s26, v4
	s_delay_alu instid0(VALU_DEP_1) | instskip(NEXT) | instid1(VALU_DEP_1)
	v_mul_hi_u32 v7, v4, v7
	v_add_nc_u32_e32 v4, v4, v7
	s_delay_alu instid0(VALU_DEP_1) | instskip(NEXT) | instid1(VALU_DEP_1)
	v_mul_hi_u32 v4, v5, v4
	v_mul_lo_u32 v7, v4, s24
	v_add_nc_u32_e32 v8, 1, v4
	s_delay_alu instid0(VALU_DEP_2) | instskip(NEXT) | instid1(VALU_DEP_1)
	v_sub_nc_u32_e32 v7, v5, v7
	v_subrev_nc_u32_e32 v9, s24, v7
	v_cmp_le_u32_e32 vcc_lo, s24, v7
	s_wait_alu 0xfffd
	s_delay_alu instid0(VALU_DEP_2) | instskip(NEXT) | instid1(VALU_DEP_1)
	v_dual_cndmask_b32 v7, v7, v9 :: v_dual_cndmask_b32 v4, v4, v8
	v_cmp_le_u32_e32 vcc_lo, s24, v7
	s_delay_alu instid0(VALU_DEP_2) | instskip(SKIP_1) | instid1(VALU_DEP_1)
	v_add_nc_u32_e32 v8, 1, v4
	s_wait_alu 0xfffd
	v_cndmask_b32_e32 v104, v4, v8, vcc_lo
.LBB0_6:                                ;   in Loop: Header=BB0_2 Depth=1
	s_wait_alu 0xfffe
	s_or_b32 exec_lo, exec_lo, s2
	v_mul_lo_u32 v4, v105, s24
	s_delay_alu instid0(VALU_DEP_2)
	v_mul_lo_u32 v9, v104, s25
	s_load_b64 s[26:27], s[18:19], 0x0
	v_mad_co_u64_u32 v[7:8], null, v104, s24, 0
	s_load_b64 s[24:25], s[16:17], 0x0
	s_add_nc_u64 s[20:21], s[20:21], 1
	s_add_nc_u64 s[16:17], s[16:17], 8
	s_wait_alu 0xfffe
	v_cmp_ge_u64_e64 s2, s[20:21], s[10:11]
	s_add_nc_u64 s[18:19], s[18:19], 8
	s_add_nc_u64 s[22:23], s[22:23], 8
	v_add3_u32 v4, v8, v9, v4
	v_sub_co_u32 v5, vcc_lo, v5, v7
	s_wait_alu 0xfffd
	s_delay_alu instid0(VALU_DEP_2) | instskip(SKIP_2) | instid1(VALU_DEP_1)
	v_sub_co_ci_u32_e32 v4, vcc_lo, v6, v4, vcc_lo
	s_and_b32 vcc_lo, exec_lo, s2
	s_wait_kmcnt 0x0
	v_mul_lo_u32 v6, s26, v4
	v_mul_lo_u32 v7, s27, v5
	v_mad_co_u64_u32 v[1:2], null, s26, v5, v[1:2]
	v_mul_lo_u32 v4, s24, v4
	v_mul_lo_u32 v8, s25, v5
	v_mad_co_u64_u32 v[100:101], null, s24, v5, v[100:101]
	s_delay_alu instid0(VALU_DEP_4) | instskip(NEXT) | instid1(VALU_DEP_2)
	v_add3_u32 v2, v7, v2, v6
	v_add3_u32 v101, v8, v101, v4
	s_wait_alu 0xfffe
	s_cbranch_vccnz .LBB0_8
; %bb.7:                                ;   in Loop: Header=BB0_2 Depth=1
	v_dual_mov_b32 v5, v104 :: v_dual_mov_b32 v6, v105
	s_branch .LBB0_2
.LBB0_8:
	s_load_b64 s[0:1], s[0:1], 0x28
	v_mul_hi_u32 v3, 0x7878788, v0
	s_lshl_b64 s[2:3], s[10:11], 3
                                        ; implicit-def: $vgpr6_vgpr7
                                        ; implicit-def: $vgpr10_vgpr11
                                        ; implicit-def: $vgpr14_vgpr15
                                        ; implicit-def: $vgpr18_vgpr19
                                        ; implicit-def: $vgpr22_vgpr23
                                        ; implicit-def: $vgpr26_vgpr27
                                        ; implicit-def: $vgpr34_vgpr35
                                        ; implicit-def: $vgpr38_vgpr39
                                        ; implicit-def: $vgpr42_vgpr43
                                        ; implicit-def: $vgpr46_vgpr47
                                        ; implicit-def: $vgpr70_vgpr71
                                        ; implicit-def: $vgpr66_vgpr67
                                        ; implicit-def: $vgpr62_vgpr63
                                        ; implicit-def: $vgpr58_vgpr59
                                        ; implicit-def: $vgpr54_vgpr55
                                        ; implicit-def: $vgpr50_vgpr51
                                        ; implicit-def: $vgpr30_vgpr31
	s_delay_alu instid0(VALU_DEP_1) | instskip(NEXT) | instid1(VALU_DEP_1)
	v_mul_u32_u24_e32 v3, 34, v3
	v_sub_nc_u32_e32 v102, v0, v3
	s_wait_kmcnt 0x0
	v_cmp_gt_u64_e32 vcc_lo, s[0:1], v[104:105]
	s_delay_alu instid0(VALU_DEP_2) | instskip(NEXT) | instid1(VALU_DEP_1)
	v_cmp_gt_u32_e64 s0, 30, v102
	s_and_b32 s1, vcc_lo, s0
	s_wait_alu 0xfffe
	s_and_saveexec_b32 s10, s1
	s_cbranch_execz .LBB0_10
; %bb.9:
	s_add_nc_u64 s[12:13], s[12:13], s[2:3]
	v_mov_b32_e32 v103, 0
	s_load_b64 s[12:13], s[12:13], 0x0
	s_wait_kmcnt 0x0
	v_mul_lo_u32 v0, s13, v104
	v_mul_lo_u32 v5, s12, v105
	v_mad_co_u64_u32 v[3:4], null, s12, v104, 0
	s_delay_alu instid0(VALU_DEP_1) | instskip(SKIP_1) | instid1(VALU_DEP_2)
	v_add3_u32 v4, v4, v5, v0
	v_lshlrev_b64_e32 v[0:1], 4, v[1:2]
	v_lshlrev_b64_e32 v[3:4], 4, v[3:4]
	s_delay_alu instid0(VALU_DEP_1) | instskip(SKIP_1) | instid1(VALU_DEP_2)
	v_add_co_u32 v5, s1, s4, v3
	s_wait_alu 0xf1ff
	v_add_co_ci_u32_e64 v4, s1, s5, v4, s1
	v_lshlrev_b64_e32 v[2:3], 4, v[102:103]
	s_delay_alu instid0(VALU_DEP_3) | instskip(SKIP_1) | instid1(VALU_DEP_3)
	v_add_co_u32 v0, s1, v5, v0
	s_wait_alu 0xf1ff
	v_add_co_ci_u32_e64 v1, s1, v4, v1, s1
	s_delay_alu instid0(VALU_DEP_2) | instskip(SKIP_1) | instid1(VALU_DEP_2)
	v_add_co_u32 v0, s1, v0, v2
	s_wait_alu 0xf1ff
	v_add_co_ci_u32_e64 v1, s1, v1, v3, s1
	s_clause 0x10
	global_load_b128 v[28:31], v[0:1], off
	global_load_b128 v[48:51], v[0:1], off offset:480
	global_load_b128 v[52:55], v[0:1], off offset:960
	;; [unrolled: 1-line block ×16, first 2 shown]
.LBB0_10:
	s_wait_alu 0xfffe
	s_or_b32 exec_lo, exec_lo, s10
	s_wait_loadcnt 0x0
	v_add_f64_e32 v[91:92], v[4:5], v[48:49]
	s_mov_b32 s4, 0x75d4884
	s_mov_b32 s10, 0x2b2883cd
	;; [unrolled: 1-line block ×4, first 2 shown]
	v_add_f64_e64 v[112:113], v[50:51], -v[6:7]
	v_add_f64_e32 v[93:94], v[8:9], v[52:53]
	s_mov_b32 s30, 0x2a9d6da3
	s_mov_b32 s12, 0x3259b75e
	;; [unrolled: 1-line block ×8, first 2 shown]
	v_add_f64_e64 v[130:131], v[54:55], -v[10:11]
	v_add_f64_e32 v[108:109], v[12:13], v[56:57]
	s_mov_b32 s28, 0xeb564b22
	s_mov_b32 s22, 0x6c9a05f6
	;; [unrolled: 1-line block ×6, first 2 shown]
	v_add_f64_e64 v[142:143], v[58:59], -v[14:15]
	v_add_f64_e32 v[95:96], v[16:17], v[60:61]
	s_mov_b32 s52, 0xacd6c6b4
	s_mov_b32 s20, 0xc61f0d01
	;; [unrolled: 1-line block ×4, first 2 shown]
	v_add_f64_e64 v[124:125], v[62:63], -v[18:19]
	v_add_f64_e32 v[88:89], v[20:21], v[64:65]
	s_mov_b32 s48, 0x923c349f
	s_mov_b32 s24, 0x910ea3b9
	;; [unrolled: 1-line block ×6, first 2 shown]
	v_add_f64_e64 v[140:141], v[66:67], -v[22:23]
	s_wait_alu 0xfffe
	v_mul_f64_e32 v[114:115], s[4:5], v[91:92]
	v_mul_f64_e32 v[122:123], s[10:11], v[91:92]
	v_add_f64_e32 v[80:81], v[24:25], v[68:69]
	s_mov_b32 s50, 0x4363dd80
	s_mov_b32 s34, 0x370991
	;; [unrolled: 1-line block ×3, first 2 shown]
	v_mul_f64_e32 v[132:133], s[12:13], v[93:94]
	v_mul_f64_e32 v[136:137], s[16:17], v[93:94]
	s_mov_b32 s37, 0x3fe58eea
	s_mov_b32 s35, 0x3fedd6d0
	;; [unrolled: 1-line block ×3, first 2 shown]
	v_add_f64_e64 v[120:121], v[70:71], -v[26:27]
	s_mov_b32 s46, 0x5d8e7cdc
	s_mov_b32 s47, 0xbfd71e95
	v_add_f64_e64 v[110:111], v[46:47], -v[34:35]
	s_mov_b32 s41, 0x3feca52d
	v_mul_f64_e32 v[134:135], s[16:17], v[108:109]
	v_mul_f64_e32 v[138:139], s[18:19], v[108:109]
	s_mov_b32 s40, s38
	v_add_f64_e64 v[86:87], v[42:43], -v[38:39]
	s_mov_b32 s45, 0x3fd71e95
	s_mov_b32 s43, 0xbfe0d888
	;; [unrolled: 1-line block ×4, first 2 shown]
	v_mul_f64_e32 v[126:127], s[18:19], v[95:96]
	v_mul_f64_e32 v[128:129], s[20:21], v[95:96]
	v_mul_hi_u32 v99, 0x24924925, v90
	v_mul_f64_e32 v[116:117], s[24:25], v[88:89]
	v_mul_f64_e32 v[118:119], s[4:5], v[88:89]
	s_delay_alu instid0(VALU_DEP_3)
	v_sub_nc_u32_e32 v103, v90, v99
	v_fma_f64 v[0:1], v[112:113], s[30:31], v[114:115]
	v_fma_f64 v[2:3], v[112:113], s[38:39], v[122:123]
	v_mul_f64_e32 v[97:98], s[20:21], v[80:81]
	s_wait_alu 0xfffe
	v_mul_f64_e32 v[106:107], s[34:35], v[80:81]
	v_lshrrev_b32_e32 v103, 1, v103
	v_fma_f64 v[72:73], v[130:131], s[28:29], v[132:133]
	v_fma_f64 v[74:75], v[130:131], s[22:23], v[136:137]
	s_delay_alu instid0(VALU_DEP_3) | instskip(NEXT) | instid1(VALU_DEP_1)
	v_add_nc_u32_e32 v99, v103, v99
	v_lshrrev_b32_e32 v99, 2, v99
	v_fma_f64 v[76:77], v[142:143], s[22:23], v[134:135]
	v_fma_f64 v[78:79], v[142:143], s[52:53], v[138:139]
	s_delay_alu instid0(VALU_DEP_3) | instskip(SKIP_1) | instid1(VALU_DEP_2)
	v_mul_lo_u32 v99, v99, 7
	v_fma_f64 v[82:83], v[124:125], s[48:49], v[128:129]
	v_sub_nc_u32_e32 v90, v90, v99
	s_delay_alu instid0(VALU_DEP_1) | instskip(NEXT) | instid1(VALU_DEP_1)
	v_mul_u32_u24_e32 v90, 0x1fe, v90
	v_lshlrev_b32_e32 v103, 3, v90
	v_add_f64_e32 v[0:1], v[28:29], v[0:1]
	v_add_f64_e32 v[2:3], v[28:29], v[2:3]
	v_fma_f64 v[144:145], v[120:121], s[48:49], v[97:98]
	v_fma_f64 v[146:147], v[120:121], s[46:47], v[106:107]
	s_delay_alu instid0(VALU_DEP_4) | instskip(NEXT) | instid1(VALU_DEP_4)
	v_add_f64_e32 v[0:1], v[72:73], v[0:1]
	v_add_f64_e32 v[2:3], v[74:75], v[2:3]
	v_fma_f64 v[72:73], v[124:125], s[26:27], v[126:127]
	v_add_f64_e32 v[74:75], v[32:33], v[44:45]
	s_delay_alu instid0(VALU_DEP_4) | instskip(NEXT) | instid1(VALU_DEP_4)
	v_add_f64_e32 v[0:1], v[76:77], v[0:1]
	v_add_f64_e32 v[2:3], v[78:79], v[2:3]
	v_fma_f64 v[76:77], v[140:141], s[50:51], v[116:117]
	v_fma_f64 v[78:79], v[140:141], s[36:37], v[118:119]
	v_mul_f64_e32 v[84:85], s[12:13], v[74:75]
	v_add_f64_e32 v[0:1], v[72:73], v[0:1]
	v_add_f64_e32 v[2:3], v[82:83], v[2:3]
	;; [unrolled: 1-line block ×3, first 2 shown]
	v_mul_f64_e32 v[82:83], s[10:11], v[74:75]
	v_fma_f64 v[150:151], v[110:111], s[28:29], v[84:85]
	v_add_f64_e32 v[0:1], v[76:77], v[0:1]
	v_add_f64_e32 v[2:3], v[78:79], v[2:3]
	v_mul_f64_e32 v[76:77], s[34:35], v[72:73]
	v_mul_f64_e32 v[78:79], s[24:25], v[72:73]
	v_fma_f64 v[148:149], v[110:111], s[40:41], v[82:83]
	v_add_f64_e32 v[0:1], v[144:145], v[0:1]
	v_add_f64_e32 v[2:3], v[146:147], v[2:3]
	v_fma_f64 v[144:145], v[86:87], s[44:45], v[76:77]
	v_fma_f64 v[146:147], v[86:87], s[42:43], v[78:79]
	s_delay_alu instid0(VALU_DEP_4) | instskip(NEXT) | instid1(VALU_DEP_4)
	v_add_f64_e32 v[0:1], v[148:149], v[0:1]
	v_add_f64_e32 v[148:149], v[150:151], v[2:3]
	s_delay_alu instid0(VALU_DEP_2) | instskip(NEXT) | instid1(VALU_DEP_2)
	v_add_f64_e32 v[2:3], v[144:145], v[0:1]
	v_add_f64_e32 v[0:1], v[146:147], v[148:149]
	s_and_saveexec_b32 s1, s0
	s_cbranch_execz .LBB0_12
; %bb.11:
	v_add_f64_e32 v[144:145], v[48:49], v[28:29]
	v_mul_f64_e32 v[146:147], s[26:27], v[112:113]
	v_mul_f64_e32 v[148:149], s[42:43], v[112:113]
	;; [unrolled: 1-line block ×3, first 2 shown]
	s_mov_b32 s55, 0xbfeec746
	s_mov_b32 s54, s48
	v_mul_f64_e32 v[152:153], s[28:29], v[112:113]
	v_mul_f64_e32 v[154:155], s[38:39], v[112:113]
	;; [unrolled: 1-line block ×19, first 2 shown]
	s_mov_b32 s53, 0x3fe9895b
	s_mov_b32 s52, s22
	v_mul_f64_e32 v[172:173], s[48:49], v[124:125]
	v_mul_f64_e32 v[180:181], s[36:37], v[124:125]
	v_add_f64_e32 v[144:145], v[52:53], v[144:145]
	v_fma_f64 v[170:171], v[91:92], s[18:19], v[146:147]
	v_fma_f64 v[146:147], v[91:92], s[18:19], -v[146:147]
	v_fma_f64 v[182:183], v[91:92], s[24:25], v[148:149]
	v_fma_f64 v[148:149], v[91:92], s[24:25], -v[148:149]
	;; [unrolled: 2-line block ×4, first 2 shown]
	v_add_f64_e64 v[122:123], v[122:123], -v[154:155]
	v_fma_f64 v[154:155], v[91:92], s[20:21], -v[156:157]
	v_fma_f64 v[188:189], v[91:92], s[34:35], -v[158:159]
	v_fma_f64 v[156:157], v[91:92], s[20:21], v[156:157]
	v_add_f64_e64 v[112:113], v[114:115], -v[112:113]
	v_fma_f64 v[90:91], v[91:92], s[34:35], v[158:159]
	v_mul_f64_e32 v[158:159], s[22:23], v[142:143]
	v_mul_f64_e32 v[142:143], s[38:39], v[142:143]
	v_add_f64_e64 v[136:137], v[136:137], -v[160:161]
	v_add_f64_e64 v[132:133], v[132:133], -v[162:163]
	v_fma_f64 v[160:161], v[93:94], s[34:35], v[164:165]
	v_fma_f64 v[162:163], v[93:94], s[34:35], -v[164:165]
	v_fma_f64 v[164:165], v[93:94], s[10:11], v[166:167]
	v_fma_f64 v[166:167], v[93:94], s[10:11], -v[166:167]
	;; [unrolled: 2-line block ×4, first 2 shown]
	v_fma_f64 v[204:205], v[93:94], s[4:5], v[178:179]
	v_fma_f64 v[206:207], v[93:94], s[24:25], v[130:131]
	v_fma_f64 v[130:131], v[93:94], s[24:25], -v[130:131]
	v_fma_f64 v[92:93], v[93:94], s[4:5], -v[178:179]
	v_add_f64_e64 v[138:139], v[138:139], -v[176:177]
	v_fma_f64 v[176:177], v[108:109], s[24:25], -v[190:191]
	v_fma_f64 v[208:209], v[108:109], s[4:5], v[196:197]
	v_fma_f64 v[196:197], v[108:109], s[4:5], -v[196:197]
	v_fma_f64 v[210:211], v[108:109], s[20:21], v[198:199]
	v_fma_f64 v[198:199], v[108:109], s[20:21], -v[198:199]
	v_add_f64_e64 v[128:129], v[128:129], -v[172:173]
	v_add_f64_e32 v[144:145], v[56:57], v[144:145]
	v_add_f64_e32 v[170:171], v[28:29], v[170:171]
	;; [unrolled: 1-line block ×15, first 2 shown]
	v_mul_f64_e32 v[90:91], s[26:27], v[124:125]
	v_add_f64_e64 v[134:135], v[134:135], -v[158:159]
	v_fma_f64 v[158:159], v[108:109], s[24:25], v[190:191]
	v_fma_f64 v[188:189], v[108:109], s[12:13], v[192:193]
	v_fma_f64 v[190:191], v[108:109], s[12:13], -v[192:193]
	v_fma_f64 v[192:193], v[108:109], s[34:35], v[194:195]
	v_fma_f64 v[194:195], v[108:109], s[34:35], -v[194:195]
	;; [unrolled: 2-line block ×3, first 2 shown]
	v_mul_f64_e32 v[142:143], s[38:39], v[124:125]
	v_fma_f64 v[172:173], v[95:96], s[4:5], v[180:181]
	v_fma_f64 v[180:181], v[95:96], s[4:5], -v[180:181]
	v_add_f64_e32 v[144:145], v[60:61], v[144:145]
	v_add_f64_e32 v[160:161], v[160:161], v[170:171]
	v_mul_f64_e32 v[170:171], s[44:45], v[124:125]
	v_add_f64_e32 v[146:147], v[162:163], v[146:147]
	v_mul_f64_e32 v[162:163], s[28:29], v[124:125]
	v_add_f64_e32 v[164:165], v[164:165], v[182:183]
	v_add_f64_e32 v[148:149], v[166:167], v[148:149]
	;; [unrolled: 1-line block ×12, first 2 shown]
	v_mul_f64_e32 v[132:133], s[50:51], v[140:141]
	s_mov_b32 s51, 0x3fefdd0d
	s_mov_b32 s50, s28
	v_mul_f64_e32 v[182:183], s[36:37], v[140:141]
	v_mul_f64_e32 v[154:155], s[22:23], v[140:141]
	;; [unrolled: 1-line block ×5, first 2 shown]
	s_wait_alu 0xfffe
	v_mul_f64_e32 v[184:185], s[50:51], v[140:141]
	v_mul_f64_e32 v[140:141], s[54:55], v[140:141]
	v_add_f64_e64 v[90:91], v[126:127], -v[90:91]
	v_fma_f64 v[126:127], v[95:96], s[10:11], v[142:143]
	v_fma_f64 v[142:143], v[95:96], s[10:11], -v[142:143]
	v_add_f64_e32 v[144:145], v[64:65], v[144:145]
	v_fma_f64 v[200:201], v[95:96], s[34:35], v[170:171]
	v_fma_f64 v[170:171], v[95:96], s[34:35], -v[170:171]
	v_fma_f64 v[202:203], v[95:96], s[12:13], v[162:163]
	v_fma_f64 v[162:163], v[95:96], s[12:13], -v[162:163]
	v_add_f64_e32 v[146:147], v[176:177], v[146:147]
	v_add_f64_e32 v[148:149], v[190:191], v[148:149]
	;; [unrolled: 1-line block ×6, first 2 shown]
	v_mul_f64_e32 v[138:139], s[40:41], v[120:121]
	v_add_f64_e32 v[92:93], v[108:109], v[92:93]
	v_add_f64_e32 v[108:109], v[208:209], v[136:137]
	v_add_f64_e32 v[112:113], v[134:135], v[112:113]
	v_add_f64_e32 v[28:29], v[212:213], v[28:29]
	v_mul_f64_e32 v[134:135], s[46:47], v[120:121]
	v_mul_f64_e32 v[136:137], s[48:49], v[120:121]
	;; [unrolled: 1-line block ×3, first 2 shown]
	v_add_f64_e64 v[118:119], v[118:119], -v[182:183]
	v_add_f64_e64 v[116:117], v[116:117], -v[132:133]
	v_fma_f64 v[132:133], v[88:89], s[16:17], v[154:155]
	v_fma_f64 v[154:155], v[88:89], s[16:17], -v[154:155]
	v_fma_f64 v[182:183], v[88:89], s[34:35], v[156:157]
	v_fma_f64 v[156:157], v[88:89], s[34:35], -v[156:157]
	;; [unrolled: 2-line block ×4, first 2 shown]
	v_fma_f64 v[196:197], v[88:89], s[20:21], v[140:141]
	v_add_f64_e32 v[144:145], v[68:69], v[144:145]
	v_add_f64_e32 v[152:153], v[170:171], v[152:153]
	;; [unrolled: 1-line block ×4, first 2 shown]
	v_mul_f64_e32 v[130:131], s[36:37], v[110:111]
	v_add_f64_e32 v[92:93], v[162:163], v[92:93]
	v_add_f64_e32 v[108:109], v[126:127], v[108:109]
	;; [unrolled: 1-line block ×4, first 2 shown]
	v_mul_f64_e32 v[126:127], s[40:41], v[110:111]
	v_mul_f64_e32 v[142:143], s[26:27], v[110:111]
	;; [unrolled: 1-line block ×3, first 2 shown]
	v_add_f64_e64 v[106:107], v[106:107], -v[134:135]
	v_fma_f64 v[134:135], v[80:81], s[10:11], -v[138:139]
	v_fma_f64 v[170:171], v[80:81], s[24:25], -v[176:177]
	v_add_f64_e32 v[144:145], v[44:45], v[144:145]
	v_add_f64_e32 v[118:119], v[118:119], v[122:123]
	;; [unrolled: 1-line block ×3, first 2 shown]
	v_mul_f64_e32 v[128:129], s[22:23], v[86:87]
	v_add_f64_e32 v[90:91], v[116:117], v[90:91]
	v_add_f64_e32 v[28:29], v[196:197], v[28:29]
	v_mul_f64_e32 v[116:117], s[40:41], v[86:87]
	v_add_f64_e64 v[82:83], v[82:83], -v[126:127]
	v_fma_f64 v[126:127], v[74:75], s[4:5], -v[130:131]
	v_add_f64_e32 v[114:115], v[40:41], v[144:145]
	v_mul_f64_e32 v[144:145], s[42:43], v[124:125]
	v_mul_f64_e32 v[124:125], s[52:53], v[124:125]
	v_add_f64_e32 v[106:107], v[106:107], v[118:119]
	v_fma_f64 v[118:119], v[72:73], s[16:17], v[128:129]
	v_add_f64_e32 v[114:115], v[36:37], v[114:115]
	v_fma_f64 v[186:187], v[95:96], s[24:25], v[144:145]
	v_fma_f64 v[144:145], v[95:96], s[24:25], -v[144:145]
	v_fma_f64 v[204:205], v[95:96], s[16:17], v[124:125]
	v_fma_f64 v[94:95], v[95:96], s[16:17], -v[124:125]
	v_add_f64_e32 v[124:125], v[158:159], v[160:161]
	v_add_f64_e32 v[158:159], v[188:189], v[164:165]
	;; [unrolled: 1-line block ×4, first 2 shown]
	v_mul_f64_e32 v[166:167], s[26:27], v[120:121]
	v_mul_f64_e32 v[168:169], s[30:31], v[120:121]
	;; [unrolled: 1-line block ×4, first 2 shown]
	v_fma_f64 v[192:193], v[88:89], s[10:11], v[178:179]
	v_fma_f64 v[178:179], v[88:89], s[10:11], -v[178:179]
	v_fma_f64 v[88:89], v[88:89], s[20:21], -v[140:141]
	v_add_f64_e32 v[140:141], v[180:181], v[146:147]
	v_add_f64_e64 v[96:97], v[97:98], -v[136:137]
	v_fma_f64 v[98:99], v[80:81], s[10:11], v[138:139]
	v_add_f64_e32 v[114:115], v[32:33], v[114:115]
	v_add_f64_e32 v[144:145], v[144:145], v[150:151]
	;; [unrolled: 1-line block ×7, first 2 shown]
	v_mul_f64_e32 v[158:159], s[46:47], v[110:111]
	v_mul_f64_e32 v[160:161], s[42:43], v[110:111]
	v_fma_f64 v[136:137], v[80:81], s[18:19], v[166:167]
	v_fma_f64 v[138:139], v[80:81], s[18:19], -v[166:167]
	v_fma_f64 v[164:165], v[80:81], s[4:5], v[168:169]
	v_fma_f64 v[166:167], v[80:81], s[4:5], -v[168:169]
	v_fma_f64 v[168:169], v[80:81], s[24:25], v[176:177]
	v_fma_f64 v[172:173], v[80:81], s[16:17], v[188:189]
	v_fma_f64 v[176:177], v[80:81], s[16:17], -v[188:189]
	v_fma_f64 v[180:181], v[80:81], s[12:13], v[120:121]
	v_fma_f64 v[80:81], v[80:81], s[12:13], -v[120:121]
	v_add_f64_e32 v[88:89], v[88:89], v[92:93]
	v_add_f64_e32 v[92:93], v[190:191], v[108:109]
	v_add_f64_e32 v[90:91], v[96:97], v[90:91]
	v_add_f64_e32 v[114:115], v[24:25], v[114:115]
	v_add_f64_e32 v[144:145], v[184:185], v[144:145]
	v_add_f64_e32 v[94:95], v[156:157], v[94:95]
	v_add_f64_e32 v[120:121], v[132:133], v[124:125]
	v_add_f64_e32 v[124:125], v[154:155], v[140:141]
	v_add_f64_e32 v[132:133], v[182:183], v[146:147]
	v_add_f64_e32 v[140:141], v[194:195], v[148:149]
	v_add_f64_e32 v[148:149], v[178:179], v[152:153]
	v_add_f64_e32 v[146:147], v[192:193], v[150:151]
	v_mul_f64_e32 v[150:151], s[36:37], v[86:87]
	v_mul_f64_e32 v[152:153], s[42:43], v[86:87]
	;; [unrolled: 1-line block ×4, first 2 shown]
	v_fma_f64 v[174:175], v[74:75], s[34:35], v[158:159]
	v_fma_f64 v[158:159], v[74:75], s[34:35], -v[158:159]
	v_fma_f64 v[178:179], v[74:75], s[24:25], v[160:161]
	v_fma_f64 v[160:161], v[74:75], s[24:25], -v[160:161]
	;; [unrolled: 2-line block ×3, first 2 shown]
	v_add_f64_e32 v[80:81], v[80:81], v[122:123]
	v_add_f64_e32 v[88:89], v[176:177], v[88:89]
	;; [unrolled: 1-line block ×4, first 2 shown]
	v_fma_f64 v[122:123], v[72:73], s[16:17], -v[128:129]
	v_add_f64_e32 v[82:83], v[82:83], v[90:91]
	v_add_f64_e32 v[112:113], v[20:21], v[114:115]
	v_mul_f64_e32 v[114:115], s[28:29], v[110:111]
	v_mul_f64_e32 v[110:111], s[52:53], v[110:111]
	v_add_f64_e32 v[94:95], v[138:139], v[94:95]
	v_add_f64_e32 v[98:99], v[98:99], v[120:121]
	;; [unrolled: 1-line block ×5, first 2 shown]
	v_fma_f64 v[128:129], v[72:73], s[4:5], v[150:151]
	v_fma_f64 v[138:139], v[72:73], s[4:5], -v[150:151]
	v_add_f64_e64 v[78:79], v[78:79], -v[152:153]
	v_fma_f64 v[144:145], v[72:73], s[12:13], v[156:157]
	v_add_f64_e32 v[80:81], v[158:159], v[80:81]
	v_add_f64_e32 v[88:89], v[160:161], v[88:89]
	;; [unrolled: 1-line block ×5, first 2 shown]
	v_mul_f64_e32 v[112:113], s[44:45], v[86:87]
	v_mul_f64_e32 v[86:87], s[54:55], v[86:87]
	v_add_f64_e64 v[84:85], v[84:85], -v[114:115]
	v_fma_f64 v[114:115], v[74:75], s[4:5], v[130:131]
	v_fma_f64 v[130:131], v[74:75], s[18:19], v[142:143]
	v_fma_f64 v[142:143], v[74:75], s[18:19], -v[142:143]
	v_fma_f64 v[184:185], v[74:75], s[16:17], v[110:111]
	v_fma_f64 v[74:75], v[74:75], s[16:17], -v[110:111]
	v_add_f64_e32 v[110:111], v[134:135], v[124:125]
	v_add_f64_e32 v[124:125], v[164:165], v[140:141]
	;; [unrolled: 1-line block ×3, first 2 shown]
	v_fma_f64 v[140:141], v[72:73], s[18:19], -v[154:155]
	v_fma_f64 v[146:147], v[72:73], s[12:13], -v[156:157]
	v_add_f64_e32 v[94:95], v[126:127], v[94:95]
	v_add_f64_e32 v[80:81], v[122:123], v[80:81]
	;; [unrolled: 1-line block ×3, first 2 shown]
	v_fma_f64 v[108:109], v[72:73], s[10:11], v[116:117]
	v_fma_f64 v[116:117], v[72:73], s[10:11], -v[116:117]
	v_add_f64_e64 v[76:77], v[76:77], -v[112:113]
	v_fma_f64 v[112:113], v[72:73], s[18:19], v[154:155]
	v_fma_f64 v[148:149], v[72:73], s[20:21], v[86:87]
	v_fma_f64 v[72:73], v[72:73], s[20:21], -v[86:87]
	v_add_f64_e32 v[86:87], v[182:183], v[98:99]
	v_add_f64_e32 v[74:75], v[74:75], v[136:137]
	;; [unrolled: 1-line block ×23, first 2 shown]
	v_mul_u32_u24_e32 v90, 0x88, v102
	s_delay_alu instid0(VALU_DEP_1)
	v_add3_u32 v90, 0, v90, v103
	ds_store_2addr_b64 v90, v[96:97], v[86:87] offset0:8 offset1:9
	ds_store_2addr_b64 v90, v[98:99], v[94:95] offset0:10 offset1:11
	;; [unrolled: 1-line block ×7, first 2 shown]
	ds_store_2addr_b64 v90, v[82:83], v[84:85] offset1:1
	ds_store_b64 v90, v[28:29] offset:128
.LBB0_12:
	s_wait_alu 0xfffe
	s_or_b32 exec_lo, exec_lo, s1
	v_lshlrev_b32_e32 v28, 3, v102
	global_wb scope:SCOPE_SE
	s_wait_dscnt 0x0
	s_barrier_signal -1
	s_barrier_wait -1
	global_inv scope:SCOPE_SE
	v_add_nc_u32_e32 v146, 0, v28
	v_add3_u32 v144, 0, v103, v28
	v_cmp_gt_u32_e64 s1, 17, v102
	s_delay_alu instid0(VALU_DEP_3) | instskip(NEXT) | instid1(VALU_DEP_1)
	v_add_nc_u32_e32 v145, v146, v103
	v_add_nc_u32_e32 v28, 0x400, v145
	v_add_nc_u32_e32 v29, 0x800, v145
	ds_load_2addr_b64 v[84:87], v145 offset0:34 offset1:68
	ds_load_2addr_b64 v[88:91], v145 offset0:102 offset1:136
	;; [unrolled: 1-line block ×6, first 2 shown]
	ds_load_b64 v[108:109], v144
	ds_load_b64 v[106:107], v145 offset:3672
	s_and_saveexec_b32 s4, s1
	s_cbranch_execz .LBB0_14
; %bb.13:
	v_add_nc_u32_e32 v0, 0x770, v145
	ds_load_2addr_b64 v[0:3], v0 offset1:255
.LBB0_14:
	s_wait_alu 0xfffe
	s_or_b32 exec_lo, exec_lo, s4
	v_add_f64_e64 v[142:143], v[48:49], -v[4:5]
	s_mov_b32 s42, 0x7c9e640b
	s_mov_b32 s43, 0xbfeca52d
	v_add_f64_e32 v[128:129], v[6:7], v[50:51]
	v_add_f64_e64 v[140:141], v[52:53], -v[8:9]
	s_mov_b32 s10, 0x75d4884
	s_mov_b32 s4, 0x2b2883cd
	;; [unrolled: 1-line block ×8, first 2 shown]
	v_add_f64_e32 v[126:127], v[10:11], v[54:55]
	v_add_f64_e64 v[134:135], v[56:57], -v[12:13]
	s_mov_b32 s27, 0x3fc7851a
	s_mov_b32 s26, 0xacd6c6b4
	v_add_f64_e32 v[118:119], v[14:15], v[58:59]
	v_add_f64_e64 v[124:125], v[60:61], -v[16:17]
	s_mov_b32 s20, 0x7faef3
	s_mov_b32 s21, 0xbfef7484
	;; [unrolled: 4-line block ×3, first 2 shown]
	s_mov_b32 s23, 0xbfd183b1
	s_mov_b32 s53, 0x3fe0d888
	;; [unrolled: 1-line block ×3, first 2 shown]
	v_add_f64_e32 v[56:57], v[22:23], v[66:67]
	v_add_f64_e64 v[60:61], v[68:69], -v[24:25]
	s_mov_b32 s28, 0x910ea3b9
	s_mov_b32 s40, 0x5d8e7cdc
	;; [unrolled: 1-line block ×4, first 2 shown]
	v_add_f64_e32 v[48:49], v[26:27], v[70:71]
	v_add_f64_e64 v[52:53], v[44:45], -v[32:33]
	s_mov_b32 s39, 0x3feca52d
	s_wait_alu 0xfffe
	s_mov_b32 s38, s42
	v_mul_f64_e32 v[138:139], s[30:31], v[142:143]
	v_mul_f64_e32 v[136:137], s[42:43], v[142:143]
	s_mov_b32 s51, 0x3fd71e95
	s_mov_b32 s47, 0xbfe0d888
	v_mul_f64_e32 v[130:131], s[18:19], v[140:141]
	v_mul_f64_e32 v[132:133], s[24:25], v[140:141]
	s_mov_b32 s50, s40
	s_mov_b32 s46, s52
	global_wb scope:SCOPE_SE
	s_wait_dscnt 0x0
	s_barrier_signal -1
	s_barrier_wait -1
	global_inv scope:SCOPE_SE
	v_mul_f64_e32 v[120:121], s[24:25], v[134:135]
	v_mul_f64_e32 v[122:123], s[26:27], v[134:135]
	s_mov_b32 s27, 0xbfc7851a
	v_mul_f64_e32 v[112:113], s[48:49], v[124:125]
	s_wait_alu 0xfffe
	v_mul_f64_e32 v[114:115], s[26:27], v[124:125]
	v_mul_f64_e32 v[64:65], s[52:53], v[116:117]
	;; [unrolled: 1-line block ×6, first 2 shown]
	v_fma_f64 v[4:5], v[128:129], s[10:11], -v[138:139]
	v_fma_f64 v[8:9], v[128:129], s[4:5], -v[136:137]
	;; [unrolled: 1-line block ×8, first 2 shown]
	v_add_f64_e32 v[4:5], v[30:31], v[4:5]
	v_add_f64_e32 v[8:9], v[30:31], v[8:9]
	s_delay_alu instid0(VALU_DEP_2) | instskip(NEXT) | instid1(VALU_DEP_2)
	v_add_f64_e32 v[4:5], v[12:13], v[4:5]
	v_add_f64_e32 v[8:9], v[16:17], v[8:9]
	v_fma_f64 v[12:13], v[110:111], s[22:23], -v[112:113]
	v_fma_f64 v[16:17], v[110:111], s[20:21], -v[114:115]
	s_delay_alu instid0(VALU_DEP_4) | instskip(NEXT) | instid1(VALU_DEP_4)
	v_add_f64_e32 v[4:5], v[20:21], v[4:5]
	v_add_f64_e32 v[8:9], v[28:29], v[8:9]
	v_add_f64_e64 v[28:29], v[40:41], -v[36:37]
	v_mul_f64_e32 v[20:21], s[38:39], v[52:53]
	v_fma_f64 v[36:37], v[48:49], s[22:23], -v[32:33]
	v_fma_f64 v[40:41], v[48:49], s[34:35], -v[44:45]
	v_add_f64_e32 v[4:5], v[16:17], v[4:5]
	v_add_f64_e32 v[12:13], v[12:13], v[8:9]
	v_add_f64_e32 v[8:9], v[34:35], v[46:47]
	v_mul_f64_e32 v[16:17], s[46:47], v[28:29]
	s_delay_alu instid0(VALU_DEP_4) | instskip(NEXT) | instid1(VALU_DEP_4)
	v_add_f64_e32 v[96:97], v[96:97], v[4:5]
	v_add_f64_e32 v[98:99], v[98:99], v[12:13]
	;; [unrolled: 1-line block ×3, first 2 shown]
	v_mul_f64_e32 v[12:13], s[50:51], v[28:29]
	v_fma_f64 v[147:148], v[8:9], s[4:5], -v[20:21]
	v_fma_f64 v[149:150], v[8:9], s[12:13], -v[24:25]
	v_add_f64_e32 v[36:37], v[36:37], v[96:97]
	v_add_f64_e32 v[40:41], v[40:41], v[98:99]
	v_fma_f64 v[151:152], v[4:5], s[28:29], -v[16:17]
	v_fma_f64 v[96:97], v[4:5], s[34:35], -v[12:13]
	s_delay_alu instid0(VALU_DEP_4) | instskip(NEXT) | instid1(VALU_DEP_4)
	v_add_f64_e32 v[36:37], v[147:148], v[36:37]
	v_add_f64_e32 v[40:41], v[149:150], v[40:41]
	s_delay_alu instid0(VALU_DEP_2) | instskip(NEXT) | instid1(VALU_DEP_2)
	v_add_f64_e32 v[98:99], v[96:97], v[36:37]
	v_add_f64_e32 v[96:97], v[151:152], v[40:41]
	s_and_saveexec_b32 s33, s0
	s_cbranch_execz .LBB0_16
; %bb.15:
	v_add_f64_e32 v[36:37], v[50:51], v[30:31]
	v_mul_f64_e32 v[40:41], s[40:41], v[142:143]
	v_mul_f64_e32 v[50:51], s[18:19], v[142:143]
	s_mov_b32 s45, 0xbfeec746
	s_mov_b32 s44, s48
	v_mul_f64_e32 v[147:148], s[12:13], v[126:127]
	v_mul_f64_e32 v[149:150], s[16:17], v[126:127]
	;; [unrolled: 1-line block ×10, first 2 shown]
	s_mov_b32 s49, 0x3fe9895b
	s_mov_b32 s48, s24
	v_mul_f64_e32 v[187:188], s[42:43], v[124:125]
	v_mul_f64_e32 v[189:190], s[46:47], v[124:125]
	;; [unrolled: 1-line block ×3, first 2 shown]
	v_add_f64_e32 v[36:37], v[54:55], v[36:37]
	v_mul_f64_e32 v[54:55], s[24:25], v[142:143]
	v_fma_f64 v[159:160], v[128:129], s[34:35], v[40:41]
	v_fma_f64 v[161:162], v[128:129], s[12:13], v[50:51]
	v_fma_f64 v[50:51], v[128:129], s[12:13], -v[50:51]
	v_fma_f64 v[40:41], v[128:129], s[34:35], -v[40:41]
	v_add_f64_e32 v[130:131], v[147:148], v[130:131]
	v_add_f64_e32 v[132:133], v[149:150], v[132:133]
	v_fma_f64 v[147:148], v[126:127], s[20:21], v[151:152]
	v_fma_f64 v[149:150], v[126:127], s[20:21], -v[151:152]
	v_fma_f64 v[151:152], v[126:127], s[28:29], v[153:154]
	v_fma_f64 v[153:154], v[126:127], s[28:29], -v[153:154]
	;; [unrolled: 2-line block ×6, first 2 shown]
	v_add_f64_e32 v[36:37], v[58:59], v[36:37]
	v_mul_f64_e32 v[58:59], s[26:27], v[142:143]
	v_fma_f64 v[163:164], v[128:129], s[16:17], v[54:55]
	v_fma_f64 v[54:55], v[128:129], s[16:17], -v[54:55]
	v_add_f64_e32 v[50:51], v[30:31], v[50:51]
	v_add_f64_e32 v[36:37], v[62:63], v[36:37]
	v_mul_f64_e32 v[62:63], s[46:47], v[142:143]
	v_fma_f64 v[165:166], v[128:129], s[20:21], v[58:59]
	v_fma_f64 v[58:59], v[128:129], s[20:21], -v[58:59]
	v_add_f64_e32 v[54:55], v[30:31], v[54:55]
	v_add_f64_e32 v[50:51], v[149:150], v[50:51]
	v_add_f64_e32 v[36:37], v[66:67], v[36:37]
	s_wait_alu 0xfffe
	v_mul_f64_e32 v[66:67], s[44:45], v[142:143]
	v_mul_f64_e32 v[142:143], s[30:31], v[140:141]
	;; [unrolled: 1-line block ×3, first 2 shown]
	v_fma_f64 v[167:168], v[128:129], s[28:29], -v[62:63]
	v_fma_f64 v[62:63], v[128:129], s[28:29], v[62:63]
	v_add_f64_e32 v[58:59], v[30:31], v[58:59]
	v_add_f64_e32 v[54:55], v[155:156], v[54:55]
	v_mul_f64_e32 v[155:156], s[24:25], v[116:117]
	v_add_f64_e32 v[36:37], v[70:71], v[36:37]
	v_mul_f64_e32 v[70:71], s[10:11], v[128:129]
	v_fma_f64 v[169:170], v[128:129], s[22:23], v[66:67]
	v_fma_f64 v[66:67], v[128:129], s[22:23], -v[66:67]
	v_fma_f64 v[179:180], v[126:127], s[10:11], v[142:143]
	v_fma_f64 v[142:143], v[126:127], s[10:11], -v[142:143]
	;; [unrolled: 2-line block ×3, first 2 shown]
	v_add_f64_e32 v[140:141], v[30:31], v[159:160]
	v_add_f64_e32 v[159:160], v[30:31], v[161:162]
	;; [unrolled: 1-line block ×8, first 2 shown]
	v_mul_f64_e32 v[46:47], s[4:5], v[128:129]
	v_add_f64_e32 v[70:71], v[70:71], v[138:139]
	v_mul_f64_e32 v[128:129], s[20:21], v[118:119]
	v_mul_f64_e32 v[138:139], s[42:43], v[134:135]
	;; [unrolled: 1-line block ×3, first 2 shown]
	v_add_f64_e32 v[167:168], v[30:31], v[169:170]
	v_add_f64_e32 v[66:67], v[30:31], v[66:67]
	v_mul_f64_e32 v[169:170], s[50:51], v[124:125]
	v_add_f64_e32 v[58:59], v[126:127], v[58:59]
	v_add_f64_e32 v[149:150], v[185:186], v[163:164]
	;; [unrolled: 1-line block ×4, first 2 shown]
	v_mul_f64_e32 v[157:158], s[44:45], v[116:117]
	v_fma_f64 v[163:164], v[110:111], s[4:5], -v[187:188]
	v_fma_f64 v[165:166], v[110:111], s[28:29], v[189:190]
	v_add_f64_e32 v[36:37], v[42:43], v[36:37]
	v_add_f64_e32 v[42:43], v[46:47], v[136:137]
	v_mul_f64_e32 v[46:47], s[16:17], v[118:119]
	v_add_f64_e32 v[70:71], v[30:31], v[70:71]
	v_mul_f64_e32 v[136:137], s[20:21], v[110:111]
	v_fma_f64 v[193:194], v[118:119], s[4:5], v[138:139]
	v_fma_f64 v[138:139], v[118:119], s[4:5], -v[138:139]
	v_fma_f64 v[199:200], v[118:119], s[28:29], v[134:135]
	v_add_f64_e32 v[151:152], v[151:152], v[167:168]
	v_add_f64_e32 v[66:67], v[153:154], v[66:67]
	v_mul_f64_e32 v[153:154], s[40:41], v[116:117]
	v_fma_f64 v[167:168], v[110:111], s[28:29], -v[189:190]
	v_add_f64_e32 v[62:63], v[197:198], v[62:63]
	v_add_f64_e32 v[36:37], v[38:39], v[36:37]
	;; [unrolled: 1-line block ×4, first 2 shown]
	v_mul_f64_e32 v[40:41], s[22:23], v[110:111]
	v_mul_f64_e32 v[42:43], s[18:19], v[124:125]
	;; [unrolled: 1-line block ×3, first 2 shown]
	v_add_f64_e32 v[46:47], v[46:47], v[120:121]
	v_add_f64_e32 v[120:121], v[128:129], v[122:123]
	v_fma_f64 v[122:123], v[118:119], s[22:23], v[171:172]
	v_fma_f64 v[128:129], v[118:119], s[22:23], -v[171:172]
	v_fma_f64 v[171:172], v[118:119], s[10:11], v[173:174]
	v_fma_f64 v[173:174], v[118:119], s[10:11], -v[173:174]
	v_fma_f64 v[118:119], v[118:119], s[28:29], -v[134:135]
	v_add_f64_e32 v[134:135], v[179:180], v[140:141]
	v_add_f64_e32 v[140:141], v[147:148], v[159:160]
	;; [unrolled: 1-line block ×4, first 2 shown]
	s_mov_b32 s19, 0x3fefdd0d
	v_mul_f64_e32 v[130:131], s[10:11], v[56:57]
	v_add_f64_e32 v[114:115], v[136:137], v[114:115]
	v_fma_f64 v[136:137], v[110:111], s[34:35], -v[169:170]
	v_fma_f64 v[161:162], v[110:111], s[4:5], v[187:188]
	v_fma_f64 v[179:180], v[110:111], s[10:11], -v[191:192]
	v_add_f64_e32 v[54:55], v[167:168], v[54:55]
	v_add_f64_e32 v[34:35], v[34:35], v[36:37]
	v_add_f64_e32 v[36:37], v[132:133], v[38:39]
	v_add_f64_e32 v[30:31], v[142:143], v[30:31]
	v_mul_f64_e32 v[38:39], s[28:29], v[56:57]
	v_mul_f64_e32 v[132:133], s[42:43], v[116:117]
	;; [unrolled: 1-line block ×3, first 2 shown]
	s_wait_alu 0xfffe
	v_mul_f64_e32 v[116:117], s[18:19], v[116:117]
	v_fma_f64 v[159:160], v[110:111], s[12:13], v[42:43]
	v_fma_f64 v[42:43], v[110:111], s[12:13], -v[42:43]
	v_add_f64_e32 v[40:41], v[40:41], v[112:113]
	v_fma_f64 v[112:113], v[110:111], s[34:35], v[169:170]
	v_fma_f64 v[169:170], v[110:111], s[10:11], v[191:192]
	;; [unrolled: 1-line block ×3, first 2 shown]
	v_fma_f64 v[110:111], v[110:111], s[16:17], -v[124:125]
	v_add_f64_e32 v[124:125], v[193:194], v[134:135]
	v_add_f64_e32 v[134:135], v[199:200], v[149:150]
	;; [unrolled: 1-line block ×10, first 2 shown]
	v_mul_f64_e32 v[149:150], s[38:39], v[60:61]
	v_fma_f64 v[151:152], v[56:57], s[34:35], v[153:154]
	v_fma_f64 v[153:154], v[56:57], s[34:35], -v[153:154]
	v_fma_f64 v[171:172], v[56:57], s[16:17], v[155:156]
	v_fma_f64 v[155:156], v[56:57], s[16:17], -v[155:156]
	;; [unrolled: 2-line block ×3, first 2 shown]
	v_mul_f64_e32 v[70:71], s[34:35], v[48:49]
	v_mul_f64_e32 v[140:141], s[30:31], v[60:61]
	;; [unrolled: 1-line block ×3, first 2 shown]
	v_add_f64_e32 v[26:27], v[26:27], v[34:35]
	v_add_f64_e32 v[34:35], v[120:121], v[36:37]
	;; [unrolled: 1-line block ×5, first 2 shown]
	v_fma_f64 v[68:69], v[56:57], s[4:5], v[132:133]
	v_fma_f64 v[130:131], v[56:57], s[4:5], -v[132:133]
	v_fma_f64 v[132:133], v[56:57], s[20:21], v[142:143]
	v_fma_f64 v[142:143], v[56:57], s[20:21], -v[142:143]
	;; [unrolled: 2-line block ×3, first 2 shown]
	v_mul_f64_e32 v[36:37], s[22:23], v[48:49]
	v_mul_f64_e32 v[138:139], s[46:47], v[60:61]
	;; [unrolled: 1-line block ×3, first 2 shown]
	v_add_f64_e32 v[116:117], v[159:160], v[124:125]
	v_add_f64_e32 v[124:125], v[169:170], v[134:135]
	;; [unrolled: 1-line block ×5, first 2 shown]
	v_mul_f64_e32 v[60:61], s[18:19], v[60:61]
	v_add_f64_e32 v[50:51], v[136:137], v[50:51]
	v_add_f64_e32 v[118:119], v[161:162], v[126:127]
	;; [unrolled: 1-line block ×6, first 2 shown]
	v_mul_f64_e32 v[114:115], s[40:41], v[52:53]
	v_mul_f64_e32 v[126:127], s[26:27], v[52:53]
	;; [unrolled: 1-line block ×4, first 2 shown]
	v_fma_f64 v[161:162], v[48:49], s[4:5], v[149:150]
	v_fma_f64 v[149:150], v[48:49], s[4:5], -v[149:150]
	v_fma_f64 v[159:160], v[48:49], s[20:21], v[147:148]
	v_fma_f64 v[147:148], v[48:49], s[20:21], -v[147:148]
	v_add_f64_e32 v[22:23], v[22:23], v[26:27]
	v_add_f64_e32 v[26:27], v[40:41], v[34:35]
	;; [unrolled: 1-line block ×3, first 2 shown]
	v_mul_f64_e32 v[34:35], s[4:5], v[8:9]
	v_mul_f64_e32 v[40:41], s[12:13], v[8:9]
	;; [unrolled: 1-line block ×4, first 2 shown]
	v_add_f64_e32 v[54:55], v[56:57], v[54:55]
	v_add_f64_e32 v[32:33], v[36:37], v[32:33]
	v_add_f64_e32 v[36:37], v[70:71], v[44:45]
	v_fma_f64 v[44:45], v[48:49], s[28:29], v[138:139]
	v_fma_f64 v[70:71], v[48:49], s[28:29], -v[138:139]
	v_add_f64_e32 v[56:57], v[171:172], v[124:125]
	v_add_f64_e32 v[58:59], v[155:156], v[58:59]
	v_fma_f64 v[138:139], v[48:49], s[10:11], v[140:141]
	v_fma_f64 v[140:141], v[48:49], s[10:11], -v[140:141]
	v_add_f64_e32 v[68:69], v[68:69], v[112:113]
	v_add_f64_e32 v[110:111], v[153:154], v[110:111]
	v_fma_f64 v[136:137], v[48:49], s[16:17], v[120:121]
	v_fma_f64 v[120:121], v[48:49], s[16:17], -v[120:121]
	v_fma_f64 v[163:164], v[48:49], s[12:13], v[60:61]
	v_fma_f64 v[48:49], v[48:49], s[12:13], -v[60:61]
	v_add_f64_e32 v[60:61], v[173:174], v[116:117]
	v_add_f64_e32 v[50:51], v[130:131], v[50:51]
	;; [unrolled: 1-line block ×7, first 2 shown]
	v_mul_f64_e32 v[46:47], s[28:29], v[4:5]
	v_mul_f64_e32 v[118:119], s[36:37], v[28:29]
	;; [unrolled: 1-line block ×5, first 2 shown]
	v_fma_f64 v[142:143], v[8:9], s[10:11], v[128:129]
	v_add_f64_e32 v[18:19], v[18:19], v[22:23]
	v_add_f64_e32 v[22:23], v[64:65], v[26:27]
	;; [unrolled: 1-line block ×3, first 2 shown]
	v_mul_f64_e32 v[30:31], s[34:35], v[4:5]
	v_mul_f64_e32 v[64:65], s[26:27], v[28:29]
	;; [unrolled: 1-line block ×3, first 2 shown]
	v_fma_f64 v[132:133], v[8:9], s[28:29], v[42:43]
	v_fma_f64 v[42:43], v[8:9], s[28:29], -v[42:43]
	v_add_f64_e32 v[20:21], v[34:35], v[20:21]
	v_add_f64_e32 v[24:25], v[40:41], v[24:25]
	v_fma_f64 v[34:35], v[8:9], s[34:35], v[114:115]
	v_fma_f64 v[40:41], v[8:9], s[34:35], -v[114:115]
	v_fma_f64 v[114:115], v[8:9], s[20:21], v[126:127]
	v_fma_f64 v[126:127], v[8:9], s[20:21], -v[126:127]
	v_fma_f64 v[128:129], v[8:9], s[10:11], -v[128:129]
	v_fma_f64 v[151:152], v[8:9], s[16:17], v[134:135]
	v_fma_f64 v[134:135], v[8:9], s[16:17], -v[134:135]
	v_fma_f64 v[153:154], v[8:9], s[22:23], v[52:53]
	v_fma_f64 v[8:9], v[8:9], s[22:23], -v[52:53]
	v_add_f64_e32 v[56:57], v[161:162], v[56:57]
	v_add_f64_e32 v[58:59], v[149:150], v[58:59]
	;; [unrolled: 1-line block ×13, first 2 shown]
	v_fma_f64 v[38:39], v[4:5], s[10:11], -v[118:119]
	v_fma_f64 v[46:47], v[4:5], s[16:17], v[122:123]
	v_fma_f64 v[66:67], v[4:5], s[4:5], v[124:125]
	v_fma_f64 v[110:111], v[4:5], s[4:5], -v[124:125]
	v_fma_f64 v[112:113], v[4:5], s[22:23], v[130:131]
	v_add_f64_e32 v[14:15], v[14:15], v[18:19]
	v_add_f64_e32 v[18:19], v[36:37], v[22:23]
	;; [unrolled: 1-line block ×4, first 2 shown]
	v_fma_f64 v[26:27], v[4:5], s[20:21], v[64:65]
	v_fma_f64 v[36:37], v[4:5], s[20:21], -v[64:65]
	v_fma_f64 v[30:31], v[4:5], s[10:11], v[118:119]
	v_fma_f64 v[64:65], v[4:5], s[16:17], -v[122:123]
	v_fma_f64 v[116:117], v[4:5], s[22:23], -v[130:131]
	v_fma_f64 v[118:119], v[4:5], s[12:13], v[28:29]
	v_fma_f64 v[4:5], v[4:5], s[12:13], -v[28:29]
	v_add_f64_e32 v[56:57], v[153:154], v[56:57]
	v_add_f64_e32 v[8:9], v[8:9], v[58:59]
	;; [unrolled: 1-line block ×30, first 2 shown]
	v_lshlrev_b32_e32 v16, 7, v102
	s_delay_alu instid0(VALU_DEP_1)
	v_add3_u32 v16, v146, v16, v103
	ds_store_2addr_b64 v16, v[32:33], v[4:5] offset0:8 offset1:9
	ds_store_2addr_b64 v16, v[8:9], v[30:31] offset0:10 offset1:11
	;; [unrolled: 1-line block ×6, first 2 shown]
	ds_store_2addr_b64 v16, v[6:7], v[22:23] offset1:1
	ds_store_2addr_b64 v16, v[12:13], v[10:11] offset0:2 offset1:3
	ds_store_b64 v16, v[14:15] offset:128
.LBB0_16:
	s_or_b32 exec_lo, exec_lo, s33
	v_add_nc_u32_e32 v4, 0x400, v145
	v_add_nc_u32_e32 v12, 0x800, v145
	global_wb scope:SCOPE_SE
	s_wait_dscnt 0x0
	s_barrier_signal -1
	s_barrier_wait -1
	global_inv scope:SCOPE_SE
	ds_load_2addr_b64 v[16:19], v4 offset0:127 offset1:161
	ds_load_2addr_b64 v[4:7], v145 offset0:34 offset1:68
	;; [unrolled: 1-line block ×6, first 2 shown]
	ds_load_b64 v[60:61], v144
	ds_load_b64 v[62:63], v145 offset:3672
	s_add_nc_u64 s[2:3], s[14:15], s[2:3]
	s_and_saveexec_b32 s0, s1
	s_cbranch_execz .LBB0_18
; %bb.17:
	v_add_nc_u32_e32 v28, 0x770, v145
	ds_load_2addr_b64 v[96:99], v28 offset1:255
.LBB0_18:
	s_wait_alu 0xfffe
	s_or_b32 exec_lo, exec_lo, s0
	v_add_nc_u32_e32 v65, 34, v102
	v_subrev_nc_u32_e32 v28, 17, v102
	v_dual_mov_b32 v111, 0 :: v_dual_add_nc_u32 v64, 0x44, v102
	v_add_nc_u16 v66, v102, 0x66
	s_delay_alu instid0(VALU_DEP_4) | instskip(NEXT) | instid1(VALU_DEP_4)
	v_and_b32_e32 v29, 0xff, v65
	v_cndmask_b32_e64 v110, v28, v102, s1
	s_delay_alu instid0(VALU_DEP_4)
	v_and_b32_e32 v30, 0xff, v64
	v_add_nc_u16 v67, v102, 0x88
	v_add_nc_u16 v32, v102, 0xaa
	v_mul_lo_u16 v28, 0xf1, v29
	v_add_nc_u16 v33, v102, 0xcc
	v_mul_lo_u16 v70, 0xf1, v30
	v_and_b32_e32 v31, 0xff, v66
	v_and_b32_e32 v34, 0xff, v67
	v_lshrrev_b16 v133, 12, v28
	v_and_b32_e32 v35, 0xff, v32
	v_and_b32_e32 v36, 0xff, v33
	v_lshlrev_b64_e32 v[28:29], 4, v[110:111]
	v_mul_lo_u16 v69, 0xf1, v31
	v_mul_lo_u16 v30, v133, 17
	;; [unrolled: 1-line block ×5, first 2 shown]
	v_lshrrev_b16 v134, 12, v70
	v_sub_nc_u16 v30, v65, v30
	v_lshrrev_b16 v135, 12, v69
	v_add_co_u32 v28, s0, s8, v28
	v_lshrrev_b16 v136, 12, v68
	s_delay_alu instid0(VALU_DEP_4)
	v_and_b32_e32 v139, 0xff, v30
	v_lshrrev_b16 v137, 12, v31
	s_wait_alu 0xf1ff
	v_add_co_ci_u32_e64 v29, s0, s9, v29, s0
	v_lshrrev_b16 v138, 12, v34
	v_lshlrev_b32_e32 v34, 4, v139
	v_mul_lo_u16 v35, v134, 17
	v_mul_lo_u16 v40, v135, 17
	;; [unrolled: 1-line block ×3, first 2 shown]
	s_clause 0x1
	global_load_b128 v[28:31], v[28:29], off
	global_load_b128 v[36:39], v34, s[8:9]
	v_mul_lo_u16 v34, v137, 17
	v_mul_lo_u16 v42, v138, 17
	v_sub_nc_u16 v35, v64, v35
	v_sub_nc_u16 v40, v66, v40
	v_sub_nc_u16 v41, v67, v41
	v_sub_nc_u16 v32, v32, v34
	v_sub_nc_u16 v33, v33, v42
	v_and_b32_e32 v140, 0xff, v35
	v_and_b32_e32 v141, 0xff, v40
	;; [unrolled: 1-line block ×5, first 2 shown]
	v_lshlrev_b32_e32 v32, 4, v140
	v_lshlrev_b32_e32 v33, 4, v141
	;; [unrolled: 1-line block ×5, first 2 shown]
	s_clause 0x4
	global_load_b128 v[40:43], v32, s[8:9]
	global_load_b128 v[44:47], v33, s[8:9]
	;; [unrolled: 1-line block ×5, first 2 shown]
	v_add_nc_u32_e32 v32, 0xee, v102
	v_cmp_lt_u32_e64 s0, 16, v102
	s_load_b64 s[2:3], s[2:3], 0x0
	v_lshlrev_b32_e32 v110, 3, v110
	s_delay_alu instid0(VALU_DEP_3) | instskip(NEXT) | instid1(VALU_DEP_3)
	v_and_b32_e32 v33, 0xffff, v32
	v_cndmask_b32_e64 v71, 0, 0x110, s0
	s_delay_alu instid0(VALU_DEP_2) | instskip(NEXT) | instid1(VALU_DEP_2)
	v_mul_u32_u24_e32 v33, 0xf0f1, v33
	v_add_nc_u32_e32 v71, 0, v71
	s_delay_alu instid0(VALU_DEP_2) | instskip(NEXT) | instid1(VALU_DEP_2)
	v_lshrrev_b32_e32 v33, 20, v33
	v_add3_u32 v71, v71, v110, v103
	s_delay_alu instid0(VALU_DEP_2) | instskip(NEXT) | instid1(VALU_DEP_1)
	v_mul_lo_u16 v33, v33, 17
	v_sub_nc_u16 v32, v32, v33
	s_delay_alu instid0(VALU_DEP_1) | instskip(NEXT) | instid1(VALU_DEP_1)
	v_and_b32_e32 v147, 0xffff, v32
	v_lshlrev_b32_e32 v32, 4, v147
	global_load_b128 v[32:35], v32, s[8:9]
	global_wb scope:SCOPE_SE
	s_wait_loadcnt_dscnt 0x0
	s_wait_kmcnt 0x0
	s_barrier_signal -1
	s_barrier_wait -1
	global_inv scope:SCOPE_SE
	v_mul_f64_e32 v[111:112], v[16:17], v[30:31]
	v_mul_f64_e32 v[113:114], v[18:19], v[38:39]
	;; [unrolled: 1-line block ×7, first 2 shown]
	v_fma_f64 v[111:112], v[80:81], v[28:29], -v[111:112]
	v_fma_f64 v[113:114], v[82:83], v[36:37], -v[113:114]
	;; [unrolled: 1-line block ×7, first 2 shown]
	v_add_f64_e64 v[111:112], v[108:109], -v[111:112]
	v_add_f64_e64 v[113:114], v[84:85], -v[113:114]
	;; [unrolled: 1-line block ×7, first 2 shown]
	v_fma_f64 v[108:109], v[108:109], 2.0, -v[111:112]
	v_fma_f64 v[125:126], v[84:85], 2.0, -v[113:114]
	v_and_b32_e32 v84, 0xffff, v133
	v_and_b32_e32 v85, 0xffff, v134
	v_fma_f64 v[127:128], v[86:87], 2.0, -v[115:116]
	v_fma_f64 v[129:130], v[88:89], 2.0, -v[117:118]
	;; [unrolled: 1-line block ×5, first 2 shown]
	v_and_b32_e32 v86, 0xffff, v135
	v_and_b32_e32 v87, 0xffff, v136
	;; [unrolled: 1-line block ×4, first 2 shown]
	v_mad_u32_u24 v90, 0x110, v84, 0
	v_mad_u32_u24 v95, 0x110, v85, 0
	;; [unrolled: 1-line block ×6, first 2 shown]
	v_lshlrev_b32_e32 v85, 3, v139
	v_lshlrev_b32_e32 v86, 3, v140
	;; [unrolled: 1-line block ×7, first 2 shown]
	v_add3_u32 v85, v90, v85, v103
	v_add3_u32 v86, v95, v86, v103
	;; [unrolled: 1-line block ×6, first 2 shown]
	ds_store_2addr_b64 v71, v[108:109], v[111:112] offset1:17
	ds_store_2addr_b64 v85, v[125:126], v[113:114] offset1:17
	;; [unrolled: 1-line block ×7, first 2 shown]
	s_and_saveexec_b32 s0, s1
	s_cbranch_execz .LBB0_20
; %bb.19:
	v_mul_f64_e32 v[91:92], v[98:99], v[34:35]
	v_add3_u32 v93, 0, v84, v103
	s_delay_alu instid0(VALU_DEP_1) | instskip(NEXT) | instid1(VALU_DEP_3)
	v_add_nc_u32_e32 v93, 0x800, v93
	v_fma_f64 v[91:92], v[2:3], v[32:33], -v[91:92]
	s_delay_alu instid0(VALU_DEP_1) | instskip(NEXT) | instid1(VALU_DEP_1)
	v_add_f64_e64 v[91:92], v[0:1], -v[91:92]
	v_fma_f64 v[0:1], v[0:1], 2.0, -v[91:92]
	ds_store_2addr_b64 v93, v[0:1], v[91:92] offset0:220 offset1:237
.LBB0_20:
	s_wait_alu 0xfffe
	s_or_b32 exec_lo, exec_lo, s0
	v_mul_f64_e32 v[0:1], v[80:81], v[30:31]
	v_mul_f64_e32 v[30:31], v[82:83], v[38:39]
	v_mul_f64_e32 v[38:39], v[76:77], v[42:43]
	v_mul_f64_e32 v[42:43], v[78:79], v[46:47]
	v_mul_f64_e32 v[46:47], v[72:73], v[50:51]
	v_mul_f64_e32 v[50:51], v[74:75], v[54:55]
	v_mul_f64_e32 v[54:55], v[106:107], v[58:59]
	global_wb scope:SCOPE_SE
	s_wait_dscnt 0x0
	s_barrier_signal -1
	s_barrier_wait -1
	global_inv scope:SCOPE_SE
	v_fma_f64 v[0:1], v[16:17], v[28:29], v[0:1]
	v_fma_f64 v[16:17], v[18:19], v[36:37], v[30:31]
	v_fma_f64 v[18:19], v[20:21], v[40:41], v[38:39]
	v_fma_f64 v[20:21], v[22:23], v[44:45], v[42:43]
	v_fma_f64 v[22:23], v[24:25], v[48:49], v[46:47]
	v_fma_f64 v[24:25], v[26:27], v[52:53], v[50:51]
	v_fma_f64 v[26:27], v[62:63], v[56:57], v[54:55]
	v_add_nc_u32_e32 v36, 0x800, v145
	v_add_nc_u32_e32 v37, 0x400, v145
	v_add_f64_e64 v[38:39], v[60:61], -v[0:1]
	v_add_f64_e64 v[40:41], v[4:5], -v[16:17]
	;; [unrolled: 1-line block ×7, first 2 shown]
	ds_load_b64 v[0:1], v144
	v_fma_f64 v[52:53], v[60:61], 2.0, -v[38:39]
	v_fma_f64 v[54:55], v[4:5], 2.0, -v[40:41]
	;; [unrolled: 1-line block ×7, first 2 shown]
	ds_load_2addr_b64 v[12:15], v145 offset0:170 offset1:204
	ds_load_2addr_b64 v[4:7], v145 offset0:34 offset1:68
	;; [unrolled: 1-line block ×7, first 2 shown]
	global_wb scope:SCOPE_SE
	s_wait_dscnt 0x0
	s_barrier_signal -1
	s_barrier_wait -1
	global_inv scope:SCOPE_SE
	ds_store_2addr_b64 v71, v[52:53], v[38:39] offset1:17
	ds_store_2addr_b64 v85, v[54:55], v[40:41] offset1:17
	;; [unrolled: 1-line block ×7, first 2 shown]
	s_and_saveexec_b32 s0, s1
	s_cbranch_execz .LBB0_22
; %bb.21:
	v_mul_f64_e32 v[2:3], v[2:3], v[34:35]
	v_add3_u32 v34, 0, v84, v103
	s_delay_alu instid0(VALU_DEP_1) | instskip(NEXT) | instid1(VALU_DEP_3)
	v_add_nc_u32_e32 v34, 0x800, v34
	v_fma_f64 v[2:3], v[98:99], v[32:33], v[2:3]
	s_delay_alu instid0(VALU_DEP_1) | instskip(NEXT) | instid1(VALU_DEP_1)
	v_add_f64_e64 v[2:3], v[96:97], -v[2:3]
	v_fma_f64 v[32:33], v[96:97], 2.0, -v[2:3]
	ds_store_2addr_b64 v34, v[32:33], v[2:3] offset0:220 offset1:237
.LBB0_22:
	s_wait_alu 0xfffe
	s_or_b32 exec_lo, exec_lo, s0
	v_lshrrev_b16 v2, 13, v70
	v_dual_mov_b32 v33, 0 :: v_dual_lshlrev_b32 v32, 1, v102
	v_lshrrev_b16 v3, 13, v69
	v_lshrrev_b16 v34, 13, v68
	s_delay_alu instid0(VALU_DEP_4)
	v_mul_lo_u16 v2, v2, 34
	global_wb scope:SCOPE_SE
	s_wait_dscnt 0x0
	s_barrier_signal -1
	v_mul_lo_u16 v35, v3, 34
	v_mul_lo_u16 v34, v34, 34
	v_sub_nc_u16 v38, v64, v2
	v_lshlrev_b64_e32 v[2:3], 4, v[32:33]
	s_barrier_wait -1
	v_sub_nc_u16 v32, v66, v35
	v_sub_nc_u16 v34, v67, v34
	v_and_b32_e32 v118, 0xff, v38
	global_inv scope:SCOPE_SE
	v_add_co_u32 v2, s0, s8, v2
	s_wait_alu 0xf1ff
	v_add_co_ci_u32_e64 v3, s0, s9, v3, s0
	v_and_b32_e32 v32, 0xff, v32
	v_and_b32_e32 v119, 0xff, v34
	v_lshlrev_b32_e32 v35, 5, v118
	s_clause 0x1
	global_load_b128 v[38:41], v[2:3], off offset:288
	global_load_b128 v[42:45], v[2:3], off offset:272
	s_mov_b32 s0, 0xe8584caa
	v_lshlrev_b32_e32 v2, 5, v32
	v_lshlrev_b32_e32 v3, 5, v119
	s_clause 0x5
	global_load_b128 v[46:49], v35, s[8:9] offset:272
	global_load_b128 v[50:53], v35, s[8:9] offset:288
	;; [unrolled: 1-line block ×6, first 2 shown]
	ds_load_2addr_b64 v[74:77], v145 offset0:170 offset1:204
	ds_load_2addr_b64 v[78:81], v36 offset0:50 offset1:84
	;; [unrolled: 1-line block ×5, first 2 shown]
	s_mov_b32 s1, 0x3febb67a
	s_mov_b32 s5, 0xbfebb67a
	s_wait_alu 0xfffe
	s_mov_b32 s4, s0
	v_lshlrev_b32_e32 v32, 3, v32
	s_delay_alu instid0(VALU_DEP_1)
	v_add3_u32 v32, 0, v32, v103
	s_wait_loadcnt_dscnt 0x703
	v_mul_f64_e32 v[34:35], v[80:81], v[40:41]
	s_wait_loadcnt 0x6
	v_mul_f64_e32 v[2:3], v[74:75], v[44:45]
	v_mul_f64_e32 v[62:63], v[76:77], v[44:45]
	s_wait_dscnt 0x2
	v_mul_f64_e32 v[94:95], v[82:83], v[40:41]
	s_wait_loadcnt_dscnt 0x501
	v_mul_f64_e32 v[96:97], v[86:87], v[48:49]
	s_wait_loadcnt 0x4
	v_mul_f64_e32 v[98:99], v[84:85], v[52:53]
	s_wait_loadcnt 0x3
	v_mul_f64_e32 v[106:107], v[88:89], v[56:57]
	s_wait_loadcnt_dscnt 0x200
	v_mul_f64_e32 v[108:109], v[90:91], v[60:61]
	s_wait_loadcnt 0x1
	v_mul_f64_e32 v[110:111], v[78:79], v[68:69]
	s_wait_loadcnt 0x0
	v_mul_f64_e32 v[112:113], v[92:93], v[72:73]
	v_mul_f64_e32 v[114:115], v[12:13], v[44:45]
	;; [unrolled: 1-line block ×11, first 2 shown]
	v_fma_f64 v[34:35], v[18:19], v[38:39], -v[34:35]
	v_fma_f64 v[2:3], v[12:13], v[42:43], -v[2:3]
	;; [unrolled: 1-line block ×10, first 2 shown]
	v_fma_f64 v[74:75], v[74:75], v[42:43], v[114:115]
	v_fma_f64 v[80:81], v[80:81], v[38:39], v[116:117]
	;; [unrolled: 1-line block ×10, first 2 shown]
	ds_load_b64 v[68:69], v144
	ds_load_2addr_b64 v[12:15], v145 offset0:34 offset1:68
	ds_load_2addr_b64 v[16:19], v145 offset0:102 offset1:136
	global_wb scope:SCOPE_SE
	s_wait_dscnt 0x0
	s_barrier_signal -1
	s_barrier_wait -1
	global_inv scope:SCOPE_SE
	v_add_f64_e32 v[54:55], v[2:3], v[34:35]
	v_add_f64_e32 v[70:71], v[0:1], v[2:3]
	;; [unrolled: 1-line block ×11, first 2 shown]
	v_add_f64_e64 v[72:73], v[74:75], -v[80:81]
	v_add_f64_e32 v[82:83], v[42:43], v[38:39]
	v_add_f64_e64 v[84:85], v[42:43], -v[38:39]
	v_add_f64_e32 v[86:87], v[40:41], v[44:45]
	;; [unrolled: 2-line block ×4, first 2 shown]
	v_add_f64_e32 v[42:43], v[12:13], v[42:43]
	v_add_f64_e32 v[40:41], v[14:15], v[40:41]
	v_add_f64_e64 v[24:25], v[24:25], -v[30:31]
	v_add_f64_e64 v[26:27], v[26:27], -v[20:21]
	v_fma_f64 v[0:1], v[54:55], -0.5, v[0:1]
	v_add_f64_e64 v[54:55], v[46:47], -v[48:49]
	v_fma_f64 v[4:5], v[56:57], -0.5, v[4:5]
	v_add_f64_e64 v[56:57], v[50:51], -v[52:53]
	v_fma_f64 v[6:7], v[58:59], -0.5, v[6:7]
	v_add_f64_e32 v[58:59], v[68:69], v[74:75]
	v_fma_f64 v[8:9], v[60:61], -0.5, v[8:9]
	v_add_f64_e64 v[60:61], v[62:63], -v[28:29]
	v_fma_f64 v[10:11], v[66:67], -0.5, v[10:11]
	v_add_f64_e32 v[46:47], v[16:17], v[46:47]
	v_fma_f64 v[62:63], v[76:77], -0.5, v[68:69]
	v_add_f64_e32 v[50:51], v[18:19], v[50:51]
	v_fma_f64 v[12:13], v[82:83], -0.5, v[12:13]
	v_add_f64_e64 v[66:67], v[94:95], -v[22:23]
	v_fma_f64 v[14:15], v[86:87], -0.5, v[14:15]
	v_add_f64_e32 v[34:35], v[70:71], v[34:35]
	v_fma_f64 v[16:17], v[88:89], -0.5, v[16:17]
	v_add_f64_e32 v[28:29], v[78:79], v[28:29]
	;; [unrolled: 2-line block ×3, first 2 shown]
	v_add_f64_e32 v[20:21], v[98:99], v[20:21]
	v_add_f64_e32 v[22:23], v[106:107], v[22:23]
	;; [unrolled: 1-line block ×4, first 2 shown]
	v_fma_f64 v[68:69], v[72:73], s[0:1], v[0:1]
	s_wait_alu 0xfffe
	v_fma_f64 v[0:1], v[72:73], s[4:5], v[0:1]
	v_fma_f64 v[70:71], v[84:85], s[0:1], v[4:5]
	;; [unrolled: 1-line block ×9, first 2 shown]
	v_lshlrev_b32_e32 v54, 3, v118
	v_lshlrev_b32_e32 v55, 3, v119
	v_add_f64_e32 v[42:43], v[46:47], v[48:49]
	v_fma_f64 v[46:47], v[2:3], s[4:5], v[62:63]
	v_fma_f64 v[48:49], v[2:3], s[0:1], v[62:63]
	v_add3_u32 v82, 0, v54, v103
	v_add3_u32 v83, 0, v55, v103
	v_add_f64_e32 v[54:55], v[58:59], v[80:81]
	v_add_f64_e32 v[44:45], v[50:51], v[52:53]
	v_fma_f64 v[50:51], v[60:61], s[4:5], v[12:13]
	v_fma_f64 v[52:53], v[60:61], s[0:1], v[12:13]
	v_fma_f64 v[56:57], v[24:25], s[4:5], v[14:15]
	v_fma_f64 v[58:59], v[26:27], s[4:5], v[16:17]
	v_fma_f64 v[60:61], v[66:67], s[4:5], v[18:19]
	v_fma_f64 v[62:63], v[24:25], s[0:1], v[14:15]
	v_fma_f64 v[78:79], v[26:27], s[0:1], v[16:17]
	v_fma_f64 v[66:67], v[66:67], s[0:1], v[18:19]
	v_add_nc_u32_e32 v80, 0x800, v32
	v_add_nc_u32_e32 v81, 0x800, v83
	ds_store_2addr_b64 v145, v[34:35], v[68:69] offset1:34
	ds_store_2addr_b64 v145, v[0:1], v[28:29] offset0:68 offset1:102
	ds_store_2addr_b64 v145, v[70:71], v[4:5] offset0:136 offset1:170
	ds_store_2addr_b64 v82, v[30:31], v[72:73] offset0:204 offset1:238
	ds_store_2addr_b64 v80, v[20:21], v[74:75] offset0:50 offset1:84
	ds_store_2addr_b64 v81, v[22:23], v[76:77] offset0:152 offset1:186
	ds_store_b64 v82, v[6:7] offset:2176
	ds_store_b64 v32, v[8:9] offset:2992
	;; [unrolled: 1-line block ×3, first 2 shown]
	global_wb scope:SCOPE_SE
	s_wait_dscnt 0x0
	s_barrier_signal -1
	s_barrier_wait -1
	global_inv scope:SCOPE_SE
	ds_load_b64 v[28:29], v144
	ds_load_2addr_b64 v[4:7], v145 offset0:102 offset1:136
	ds_load_2addr_b64 v[16:19], v145 offset0:170 offset1:204
	;; [unrolled: 1-line block ×7, first 2 shown]
	global_wb scope:SCOPE_SE
	s_wait_dscnt 0x0
	s_barrier_signal -1
	s_barrier_wait -1
	global_inv scope:SCOPE_SE
	ds_store_2addr_b64 v145, v[54:55], v[46:47] offset1:34
	ds_store_2addr_b64 v145, v[48:49], v[38:39] offset0:68 offset1:102
	ds_store_2addr_b64 v145, v[50:51], v[52:53] offset0:136 offset1:170
	;; [unrolled: 1-line block ×5, first 2 shown]
	ds_store_b64 v82, v[62:63] offset:2176
	ds_store_b64 v32, v[78:79] offset:2992
	;; [unrolled: 1-line block ×3, first 2 shown]
	global_wb scope:SCOPE_SE
	s_wait_dscnt 0x0
	s_barrier_signal -1
	s_barrier_wait -1
	global_inv scope:SCOPE_SE
	s_and_saveexec_b32 s0, vcc_lo
	s_cbranch_execz .LBB0_24
; %bb.23:
	v_dual_mov_b32 v103, v33 :: v_dual_lshlrev_b32 v32, 2, v64
	v_mul_lo_u32 v156, s2, v105
	v_mul_hi_u32 v157, 0xa0a0a0a1, v65
	v_mul_hi_u32 v158, 0xa0a0a0a1, v64
	s_delay_alu instid0(VALU_DEP_4)
	v_lshlrev_b64_e32 v[30:31], 4, v[32:33]
	v_lshlrev_b32_e32 v32, 2, v65
	s_mov_b32 s4, 0x134454ff
	s_mov_b32 s5, 0xbfee6f0e
	;; [unrolled: 1-line block ×4, first 2 shown]
	v_lshlrev_b64_e32 v[50:51], 4, v[32:33]
	v_lshlrev_b32_e32 v32, 2, v102
	v_add_co_u32 v30, vcc_lo, s8, v30
	s_wait_alu 0xfffd
	v_add_co_ci_u32_e32 v31, vcc_lo, s9, v31, vcc_lo
	s_delay_alu instid0(VALU_DEP_3)
	v_lshlrev_b64_e32 v[52:53], 4, v[32:33]
	s_clause 0x3
	global_load_b128 v[34:37], v[30:31], off offset:1408
	global_load_b128 v[38:41], v[30:31], off offset:1392
	;; [unrolled: 1-line block ×4, first 2 shown]
	v_add_co_u32 v30, vcc_lo, s8, v50
	s_wait_alu 0xfffd
	v_add_co_ci_u32_e32 v31, vcc_lo, s9, v51, vcc_lo
	v_add_co_u32 v62, vcc_lo, s8, v52
	s_wait_alu 0xfffd
	v_add_co_ci_u32_e32 v63, vcc_lo, s9, v53, vcc_lo
	s_clause 0x7
	global_load_b128 v[50:53], v[30:31], off offset:1376
	global_load_b128 v[54:57], v[30:31], off offset:1360
	;; [unrolled: 1-line block ×8, first 2 shown]
	v_add_nc_u32_e32 v30, 0x800, v145
	v_add_nc_u32_e32 v31, 0x400, v145
	ds_load_2addr_b64 v[86:89], v145 offset0:170 offset1:204
	ds_load_2addr_b64 v[90:93], v30 offset0:186 offset1:220
	;; [unrolled: 1-line block ×6, first 2 shown]
	v_mul_lo_u32 v32, s3, v104
	s_mov_b32 s9, 0x3fee6f0e
	s_wait_alu 0xfffe
	s_mov_b32 s8, s4
	s_mov_b32 s3, 0xbfe2cf23
	v_lshlrev_b64_e32 v[100:101], 4, v[100:101]
	v_lshlrev_b64_e32 v[102:103], 4, v[102:103]
	s_wait_loadcnt 0xb
	v_mul_f64_e32 v[118:119], v[14:15], v[36:37]
	s_wait_loadcnt 0xa
	v_mul_f64_e32 v[98:99], v[24:25], v[40:41]
	;; [unrolled: 2-line block ×4, first 2 shown]
	s_wait_dscnt 0x5
	v_mul_f64_e32 v[48:49], v[86:87], v[48:49]
	s_wait_dscnt 0x4
	v_mul_f64_e32 v[36:37], v[92:93], v[36:37]
	;; [unrolled: 2-line block ×4, first 2 shown]
	s_wait_loadcnt 0x7
	v_mul_f64_e32 v[120:121], v[20:21], v[52:53]
	s_wait_loadcnt 0x6
	v_mul_f64_e32 v[122:123], v[6:7], v[56:57]
	;; [unrolled: 2-line block ×8, first 2 shown]
	v_mul_f64_e32 v[72:73], v[88:89], v[72:73]
	s_wait_dscnt 0x0
	v_mul_f64_e32 v[84:85], v[114:115], v[84:85]
	v_mul_f64_e32 v[76:77], v[110:111], v[76:77]
	;; [unrolled: 1-line block ×7, first 2 shown]
	v_fma_f64 v[92:93], v[92:93], v[34:35], v[118:119]
	v_fma_f64 v[30:31], v[96:97], v[42:43], v[30:31]
	;; [unrolled: 1-line block ×4, first 2 shown]
	v_fma_f64 v[16:17], v[16:17], v[46:47], -v[48:49]
	v_fma_f64 v[14:15], v[14:15], v[34:35], -v[36:37]
	;; [unrolled: 1-line block ×4, first 2 shown]
	v_fma_f64 v[34:35], v[94:95], v[50:51], v[120:121]
	v_fma_f64 v[36:37], v[112:113], v[54:55], v[122:123]
	;; [unrolled: 1-line block ×8, first 2 shown]
	v_fma_f64 v[18:19], v[18:19], v[70:71], -v[72:73]
	v_fma_f64 v[8:9], v[8:9], v[82:83], -v[84:85]
	;; [unrolled: 1-line block ×8, first 2 shown]
	ds_load_2addr_b64 v[4:7], v145 offset0:34 offset1:68
	ds_load_b64 v[52:53], v144
	v_mad_co_u64_u32 v[50:51], null, s2, v104, 0
	s_mov_b32 s2, s0
	s_delay_alu instid0(VALU_DEP_1)
	v_add3_u32 v51, v51, v156, v32
	v_add_f64_e32 v[56:57], v[62:63], v[92:93]
	v_add_f64_e32 v[60:61], v[30:31], v[86:87]
	v_add_f64_e64 v[58:59], v[30:31], -v[62:63]
	v_add_f64_e32 v[108:109], v[16:17], v[14:15]
	v_add_f64_e64 v[68:69], v[16:17], -v[14:15]
	;; [unrolled: 2-line block ×3, first 2 shown]
	v_add_f64_e64 v[112:113], v[16:17], -v[22:23]
	v_add_f64_e32 v[70:71], v[34:35], v[38:39]
	v_add_f64_e32 v[66:67], v[36:37], v[40:41]
	v_add_f64_e32 v[16:17], v[2:3], v[16:17]
	s_wait_dscnt 0x1
	v_add_f64_e32 v[128:129], v[36:37], v[4:5]
	v_add_f64_e32 v[72:73], v[44:45], v[46:47]
	;; [unrolled: 1-line block ×3, first 2 shown]
	s_wait_dscnt 0x0
	v_add_f64_e32 v[136:137], v[44:45], v[52:53]
	v_add_f64_e32 v[82:83], v[18:19], v[8:9]
	;; [unrolled: 1-line block ×4, first 2 shown]
	v_add_f64_e64 v[64:65], v[86:87], -v[92:93]
	v_add_f64_e32 v[96:97], v[20:21], v[10:11]
	v_add_f64_e32 v[134:135], v[0:1], v[54:55]
	;; [unrolled: 1-line block ×3, first 2 shown]
	v_add_f64_e64 v[76:77], v[22:23], -v[24:25]
	v_add_f64_e64 v[80:81], v[62:63], -v[30:31]
	;; [unrolled: 1-line block ×3, first 2 shown]
	v_add_f64_e32 v[90:91], v[62:63], v[6:7]
	v_add_f64_e64 v[104:105], v[24:25], -v[14:15]
	v_add_f64_e64 v[114:115], v[14:15], -v[24:25]
	;; [unrolled: 1-line block ×12, first 2 shown]
	v_fma_f64 v[56:57], v[56:57], -0.5, v[6:7]
	v_fma_f64 v[6:7], v[60:61], -0.5, v[6:7]
	v_add_f64_e64 v[60:61], v[74:75], -v[26:27]
	v_fma_f64 v[108:109], v[108:109], -0.5, v[2:3]
	v_add_f64_e64 v[54:55], v[54:55], -v[20:21]
	v_fma_f64 v[2:3], v[110:111], -0.5, v[2:3]
	v_add_f64_e64 v[146:147], v[18:19], -v[74:75]
	v_add_f64_e64 v[74:75], v[74:75], -v[18:19]
	v_add_f64_e64 v[144:145], v[48:49], -v[46:47]
	v_fma_f64 v[66:67], v[66:67], -0.5, v[4:5]
	v_fma_f64 v[4:5], v[70:71], -0.5, v[4:5]
	v_add_f64_e32 v[16:17], v[22:23], v[16:17]
	v_fma_f64 v[70:71], v[72:73], -0.5, v[52:53]
	v_fma_f64 v[52:53], v[78:79], -0.5, v[52:53]
	v_add_f64_e64 v[78:79], v[44:45], -v[46:47]
	v_fma_f64 v[82:83], v[82:83], -0.5, v[28:29]
	v_add_f64_e64 v[72:73], v[42:43], -v[48:49]
	v_fma_f64 v[28:29], v[84:85], -0.5, v[28:29]
	v_add_f64_e32 v[22:23], v[34:35], v[128:129]
	v_fma_f64 v[96:97], v[96:97], -0.5, v[0:1]
	v_add_f64_e32 v[20:21], v[20:21], v[134:135]
	;; [unrolled: 2-line block ×3, first 2 shown]
	v_add_f64_e32 v[18:19], v[18:19], v[138:139]
	v_add_f64_e64 v[84:85], v[12:13], -v[10:11]
	v_add_f64_e64 v[98:99], v[42:43], -v[44:45]
	;; [unrolled: 1-line block ×5, first 2 shown]
	v_add_f64_e32 v[58:59], v[58:59], v[64:65]
	v_add_f64_e32 v[64:65], v[80:81], v[88:89]
	;; [unrolled: 1-line block ×4, first 2 shown]
	v_add_f64_e64 v[118:119], v[38:39], -v[40:41]
	v_add_f64_e64 v[126:127], v[40:41], -v[38:39]
	v_add_f64_e64 v[148:149], v[8:9], -v[26:27]
	v_add_f64_e32 v[30:31], v[30:31], v[90:91]
	v_add_f64_e64 v[132:133], v[10:11], -v[12:13]
	v_fma_f64 v[42:43], v[76:77], s[4:5], v[56:57]
	s_wait_alu 0xfffe
	v_fma_f64 v[56:57], v[76:77], s[8:9], v[56:57]
	v_fma_f64 v[90:91], v[68:69], s[8:9], v[6:7]
	v_fma_f64 v[6:7], v[68:69], s[4:5], v[6:7]
	v_fma_f64 v[152:153], v[106:107], s[8:9], v[108:109]
	v_fma_f64 v[154:155], v[62:63], s[8:9], v[2:3]
	v_fma_f64 v[108:109], v[106:107], s[4:5], v[108:109]
	v_fma_f64 v[2:3], v[62:63], s[4:5], v[2:3]
	v_fma_f64 v[94:95], v[122:123], s[4:5], v[66:67]
	v_fma_f64 v[66:67], v[122:123], s[8:9], v[66:67]
	v_fma_f64 v[104:105], v[120:121], s[8:9], v[4:5]
	v_fma_f64 v[112:113], v[142:143], s[4:5], v[70:71]
	v_fma_f64 v[114:115], v[60:61], s[8:9], v[52:53]
	v_fma_f64 v[52:53], v[60:61], s[4:5], v[52:53]
	v_fma_f64 v[128:129], v[78:79], s[8:9], v[82:83]
	v_fma_f64 v[70:71], v[142:143], s[8:9], v[70:71]
	v_fma_f64 v[134:135], v[72:73], s[4:5], v[28:29]
	v_fma_f64 v[28:29], v[72:73], s[8:9], v[28:29]
	v_fma_f64 v[82:83], v[78:79], s[4:5], v[82:83]
	v_fma_f64 v[4:5], v[120:121], s[4:5], v[4:5]
	v_fma_f64 v[136:137], v[36:37], s[8:9], v[96:97]
	v_fma_f64 v[138:139], v[140:141], s[4:5], v[0:1]
	v_fma_f64 v[0:1], v[140:141], s[8:9], v[0:1]
	v_fma_f64 v[96:97], v[36:37], s[4:5], v[96:97]
	v_add_f64_e32 v[10:11], v[20:21], v[10:11]
	v_add_f64_e32 v[20:21], v[48:49], v[34:35]
	;; [unrolled: 1-line block ×13, first 2 shown]
	v_fma_f64 v[18:19], v[68:69], s[0:1], v[42:43]
	v_fma_f64 v[24:25], v[68:69], s[2:3], v[56:57]
	;; [unrolled: 1-line block ×4, first 2 shown]
	v_add_f64_e32 v[124:125], v[130:131], v[132:133]
	v_fma_f64 v[38:39], v[120:121], s[0:1], v[94:95]
	v_fma_f64 v[42:43], v[120:121], s[2:3], v[66:67]
	;; [unrolled: 1-line block ×20, first 2 shown]
	s_mov_b32 s0, 0x372fe950
	s_mov_b32 s1, 0x3fd3c6ef
	v_add_f64_e32 v[4:5], v[10:11], v[12:13]
	v_add_f64_e32 v[10:11], v[46:47], v[20:21]
	;; [unrolled: 1-line block ×3, first 2 shown]
	v_lshlrev_b64_e32 v[106:107], 4, v[50:51]
	v_lshrrev_b32_e32 v0, 6, v157
	v_add_f64_e32 v[2:3], v[92:93], v[30:31]
	v_add_f64_e32 v[6:7], v[40:41], v[22:23]
	v_lshrrev_b32_e32 v108, 6, v158
	s_delay_alu instid0(VALU_DEP_4)
	v_mul_u32_u24_e32 v32, 0x198, v0
	v_add_f64_e32 v[0:1], v[16:17], v[14:15]
	s_wait_alu 0xfffe
	v_fma_f64 v[14:15], v[58:59], s[0:1], v[18:19]
	v_fma_f64 v[18:19], v[58:59], s[0:1], v[24:25]
	;; [unrolled: 1-line block ×24, first 2 shown]
	v_add_co_u32 v64, vcc_lo, s6, v106
	s_wait_alu 0xfffd
	v_add_co_ci_u32_e32 v65, vcc_lo, s7, v107, vcc_lo
	v_lshlrev_b64_e32 v[62:63], 4, v[32:33]
	s_delay_alu instid0(VALU_DEP_3) | instskip(SKIP_1) | instid1(VALU_DEP_3)
	v_add_co_u32 v64, vcc_lo, v64, v100
	s_wait_alu 0xfffd
	v_add_co_ci_u32_e32 v65, vcc_lo, v65, v101, vcc_lo
	v_mul_u32_u24_e32 v32, 0x198, v108
	s_delay_alu instid0(VALU_DEP_3) | instskip(SKIP_1) | instid1(VALU_DEP_3)
	v_add_co_u32 v64, vcc_lo, v64, v102
	s_wait_alu 0xfffd
	v_add_co_ci_u32_e32 v65, vcc_lo, v65, v103, vcc_lo
	s_delay_alu instid0(VALU_DEP_3) | instskip(NEXT) | instid1(VALU_DEP_3)
	v_lshlrev_b64_e32 v[32:33], 4, v[32:33]
	v_add_co_u32 v62, vcc_lo, v64, v62
	s_wait_alu 0xfffd
	s_delay_alu instid0(VALU_DEP_3) | instskip(NEXT) | instid1(VALU_DEP_3)
	v_add_co_ci_u32_e32 v63, vcc_lo, v65, v63, vcc_lo
	v_add_co_u32 v32, vcc_lo, v64, v32
	s_wait_alu 0xfffd
	v_add_co_ci_u32_e32 v33, vcc_lo, v65, v33, vcc_lo
	s_clause 0xe
	global_store_b128 v[64:65], v[8:11], off
	global_store_b128 v[64:65], v[50:53], off offset:1632
	global_store_b128 v[64:65], v[42:45], off offset:3264
	;; [unrolled: 1-line block ×14, first 2 shown]
.LBB0_24:
	s_nop 0
	s_sendmsg sendmsg(MSG_DEALLOC_VGPRS)
	s_endpgm
	.section	.rodata,"a",@progbits
	.p2align	6, 0x0
	.amdhsa_kernel fft_rtc_fwd_len510_factors_17_2_3_5_wgs_238_tpt_34_halfLds_dp_op_CI_CI_unitstride_sbrr_dirReg
		.amdhsa_group_segment_fixed_size 0
		.amdhsa_private_segment_fixed_size 0
		.amdhsa_kernarg_size 104
		.amdhsa_user_sgpr_count 2
		.amdhsa_user_sgpr_dispatch_ptr 0
		.amdhsa_user_sgpr_queue_ptr 0
		.amdhsa_user_sgpr_kernarg_segment_ptr 1
		.amdhsa_user_sgpr_dispatch_id 0
		.amdhsa_user_sgpr_private_segment_size 0
		.amdhsa_wavefront_size32 1
		.amdhsa_uses_dynamic_stack 0
		.amdhsa_enable_private_segment 0
		.amdhsa_system_sgpr_workgroup_id_x 1
		.amdhsa_system_sgpr_workgroup_id_y 0
		.amdhsa_system_sgpr_workgroup_id_z 0
		.amdhsa_system_sgpr_workgroup_info 0
		.amdhsa_system_vgpr_workitem_id 0
		.amdhsa_next_free_vgpr 214
		.amdhsa_next_free_sgpr 56
		.amdhsa_reserve_vcc 1
		.amdhsa_float_round_mode_32 0
		.amdhsa_float_round_mode_16_64 0
		.amdhsa_float_denorm_mode_32 3
		.amdhsa_float_denorm_mode_16_64 3
		.amdhsa_fp16_overflow 0
		.amdhsa_workgroup_processor_mode 1
		.amdhsa_memory_ordered 1
		.amdhsa_forward_progress 0
		.amdhsa_round_robin_scheduling 0
		.amdhsa_exception_fp_ieee_invalid_op 0
		.amdhsa_exception_fp_denorm_src 0
		.amdhsa_exception_fp_ieee_div_zero 0
		.amdhsa_exception_fp_ieee_overflow 0
		.amdhsa_exception_fp_ieee_underflow 0
		.amdhsa_exception_fp_ieee_inexact 0
		.amdhsa_exception_int_div_zero 0
	.end_amdhsa_kernel
	.text
.Lfunc_end0:
	.size	fft_rtc_fwd_len510_factors_17_2_3_5_wgs_238_tpt_34_halfLds_dp_op_CI_CI_unitstride_sbrr_dirReg, .Lfunc_end0-fft_rtc_fwd_len510_factors_17_2_3_5_wgs_238_tpt_34_halfLds_dp_op_CI_CI_unitstride_sbrr_dirReg
                                        ; -- End function
	.section	.AMDGPU.csdata,"",@progbits
; Kernel info:
; codeLenInByte = 12512
; NumSgprs: 58
; NumVgprs: 214
; ScratchSize: 0
; MemoryBound: 1
; FloatMode: 240
; IeeeMode: 1
; LDSByteSize: 0 bytes/workgroup (compile time only)
; SGPRBlocks: 7
; VGPRBlocks: 26
; NumSGPRsForWavesPerEU: 58
; NumVGPRsForWavesPerEU: 214
; Occupancy: 7
; WaveLimiterHint : 1
; COMPUTE_PGM_RSRC2:SCRATCH_EN: 0
; COMPUTE_PGM_RSRC2:USER_SGPR: 2
; COMPUTE_PGM_RSRC2:TRAP_HANDLER: 0
; COMPUTE_PGM_RSRC2:TGID_X_EN: 1
; COMPUTE_PGM_RSRC2:TGID_Y_EN: 0
; COMPUTE_PGM_RSRC2:TGID_Z_EN: 0
; COMPUTE_PGM_RSRC2:TIDIG_COMP_CNT: 0
	.text
	.p2alignl 7, 3214868480
	.fill 96, 4, 3214868480
	.type	__hip_cuid_3a2d49a631dc1b4e,@object ; @__hip_cuid_3a2d49a631dc1b4e
	.section	.bss,"aw",@nobits
	.globl	__hip_cuid_3a2d49a631dc1b4e
__hip_cuid_3a2d49a631dc1b4e:
	.byte	0                               ; 0x0
	.size	__hip_cuid_3a2d49a631dc1b4e, 1

	.ident	"AMD clang version 19.0.0git (https://github.com/RadeonOpenCompute/llvm-project roc-6.4.0 25133 c7fe45cf4b819c5991fe208aaa96edf142730f1d)"
	.section	".note.GNU-stack","",@progbits
	.addrsig
	.addrsig_sym __hip_cuid_3a2d49a631dc1b4e
	.amdgpu_metadata
---
amdhsa.kernels:
  - .args:
      - .actual_access:  read_only
        .address_space:  global
        .offset:         0
        .size:           8
        .value_kind:     global_buffer
      - .offset:         8
        .size:           8
        .value_kind:     by_value
      - .actual_access:  read_only
        .address_space:  global
        .offset:         16
        .size:           8
        .value_kind:     global_buffer
      - .actual_access:  read_only
        .address_space:  global
        .offset:         24
        .size:           8
        .value_kind:     global_buffer
      - .actual_access:  read_only
        .address_space:  global
        .offset:         32
        .size:           8
        .value_kind:     global_buffer
      - .offset:         40
        .size:           8
        .value_kind:     by_value
      - .actual_access:  read_only
        .address_space:  global
        .offset:         48
        .size:           8
        .value_kind:     global_buffer
      - .actual_access:  read_only
        .address_space:  global
        .offset:         56
        .size:           8
        .value_kind:     global_buffer
      - .offset:         64
        .size:           4
        .value_kind:     by_value
      - .actual_access:  read_only
        .address_space:  global
        .offset:         72
        .size:           8
        .value_kind:     global_buffer
      - .actual_access:  read_only
        .address_space:  global
        .offset:         80
        .size:           8
        .value_kind:     global_buffer
      - .actual_access:  read_only
        .address_space:  global
        .offset:         88
        .size:           8
        .value_kind:     global_buffer
      - .actual_access:  write_only
        .address_space:  global
        .offset:         96
        .size:           8
        .value_kind:     global_buffer
    .group_segment_fixed_size: 0
    .kernarg_segment_align: 8
    .kernarg_segment_size: 104
    .language:       OpenCL C
    .language_version:
      - 2
      - 0
    .max_flat_workgroup_size: 238
    .name:           fft_rtc_fwd_len510_factors_17_2_3_5_wgs_238_tpt_34_halfLds_dp_op_CI_CI_unitstride_sbrr_dirReg
    .private_segment_fixed_size: 0
    .sgpr_count:     58
    .sgpr_spill_count: 0
    .symbol:         fft_rtc_fwd_len510_factors_17_2_3_5_wgs_238_tpt_34_halfLds_dp_op_CI_CI_unitstride_sbrr_dirReg.kd
    .uniform_work_group_size: 1
    .uses_dynamic_stack: false
    .vgpr_count:     214
    .vgpr_spill_count: 0
    .wavefront_size: 32
    .workgroup_processor_mode: 1
amdhsa.target:   amdgcn-amd-amdhsa--gfx1201
amdhsa.version:
  - 1
  - 2
...

	.end_amdgpu_metadata
